;; amdgpu-corpus repo=ROCm/rocFFT kind=compiled arch=gfx906 opt=O3
	.text
	.amdgcn_target "amdgcn-amd-amdhsa--gfx906"
	.amdhsa_code_object_version 6
	.protected	bluestein_single_back_len289_dim1_dp_op_CI_CI ; -- Begin function bluestein_single_back_len289_dim1_dp_op_CI_CI
	.globl	bluestein_single_back_len289_dim1_dp_op_CI_CI
	.p2align	8
	.type	bluestein_single_back_len289_dim1_dp_op_CI_CI,@function
bluestein_single_back_len289_dim1_dp_op_CI_CI: ; @bluestein_single_back_len289_dim1_dp_op_CI_CI
; %bb.0:
	v_mul_u32_u24_e32 v1, 0xf10, v0
	s_mov_b64 s[58:59], s[2:3]
	s_load_dwordx4 s[12:15], s[4:5], 0x28
	v_lshrrev_b32_e32 v1, 16, v1
	s_mov_b64 s[56:57], s[0:1]
	v_mad_u64_u32 v[2:3], s[0:1], s6, 7, v[1:2]
	v_mov_b32_e32 v3, 0
	s_add_u32 s56, s56, s7
	s_waitcnt lgkmcnt(0)
	v_cmp_gt_u64_e32 vcc, s[12:13], v[2:3]
	s_addc_u32 s57, s57, 0
	s_and_saveexec_b64 s[0:1], vcc
	s_cbranch_execz .LBB0_2
; %bb.1:
	s_mov_b32 s0, 0x24924925
	s_load_dwordx4 s[8:11], s[4:5], 0x0
	s_load_dwordx4 s[16:19], s[4:5], 0x18
	s_load_dwordx2 s[12:13], s[4:5], 0x38
	v_mul_hi_u32 v3, v2, s0
	v_mul_lo_u16_e32 v1, 17, v1
                                        ; kill: killed $sgpr8_sgpr9
	s_mov_b32 s22, 0x5d8e7cdc
	s_waitcnt lgkmcnt(0)
	s_load_dwordx4 s[0:3], s[18:19], 0x0
	v_sub_u32_e32 v4, v2, v3
	v_lshrrev_b32_e32 v4, 1, v4
	v_add_u32_e32 v3, v4, v3
	v_lshrrev_b32_e32 v3, 2, v3
	v_mul_lo_u32 v3, v3, 7
	s_waitcnt lgkmcnt(0)
	v_mad_u64_u32 v[5:6], s[4:5], s2, v2, 0
	s_mov_b32 s18, 0x923c349f
	v_sub_u32_e32 v3, v2, v3
	v_mul_u32_u24_e32 v7, 0x121, v3
	v_mov_b32_e32 v3, v6
	v_mad_u64_u32 v[3:4], s[2:3], s3, v2, v[3:4]
	v_lshlrev_b32_e32 v132, 4, v7
	s_mov_b32 s26, 0x6c9a05f6
	v_mov_b32_e32 v6, v3
	buffer_store_dword v5, off, s[56:59], 0 ; 4-byte Folded Spill
	s_nop 0
	buffer_store_dword v6, off, s[56:59], 0 offset:4 ; 4-byte Folded Spill
	s_load_dwordx4 s[4:7], s[16:17], 0x0
	s_mov_b32 s30, 0x4363dd80
	s_mov_b32 s36, 0xacd6c6b4
	;; [unrolled: 1-line block ×4, first 2 shown]
	s_waitcnt lgkmcnt(0)
	v_mad_u64_u32 v[3:4], s[2:3], s6, v2, 0
	s_mov_b32 s27, 0xbfe9895b
	s_mov_b32 s31, 0xbfe0d888
	;; [unrolled: 1-line block ×28, first 2 shown]
	v_mad_u64_u32 v[4:5], s[2:3], s7, v2, v[4:5]
	v_sub_u16_e32 v5, v0, v1
	v_mad_u64_u32 v[0:1], s[2:3], s4, v5, 0
	v_mov_b32_e32 v15, v5
	s_mov_b32 s6, 0x2b2883cd
	v_mad_u64_u32 v[1:2], s[2:3], s5, v5, v[1:2]
	v_lshlrev_b64 v[2:3], 4, v[3:4]
	v_mov_b32_e32 v4, s15
	v_add_co_u32_e32 v2, vcc, s14, v2
	v_lshlrev_b64 v[0:1], 4, v[0:1]
	v_addc_co_u32_e32 v3, vcc, v4, v3, vcc
	v_add_co_u32_e32 v9, vcc, v2, v0
	v_addc_co_u32_e32 v10, vcc, v3, v1, vcc
	v_lshlrev_b32_e32 v0, 4, v5
	global_load_dwordx4 v[1:4], v[9:10], off
	global_load_dwordx4 v[64:67], v0, s[8:9]
	v_add_co_u32_e32 v255, vcc, s8, v0
	v_mov_b32_e32 v5, s9
	v_addc_co_u32_e32 v231, vcc, 0, v5, vcc
	s_mul_i32 s2, s5, 0x110
	s_mul_hi_u32 s3, s4, 0x110
	s_add_i32 s2, s3, s2
	s_mul_i32 s3, s4, 0x110
	v_add_u32_e32 v230, v0, v132
	v_add_co_u32_e32 v9, vcc, s3, v9
                                        ; kill: killed $vgpr0
	s_mov_b32 s14, 0x2a9d6da3
	s_mov_b32 s15, 0xbfe58eea
	s_mov_b32 s4, 0x3259b75e
	s_mov_b32 s7, 0x3fdc86fa
	s_mov_b32 s5, 0x3fb79ee6
	s_mov_b32 s48, s14
	s_waitcnt vmcnt(0)
	v_mul_f64 v[5:6], v[3:4], v[66:67]
	v_fma_f64 v[5:6], v[1:2], v[64:65], v[5:6]
	v_mul_f64 v[1:2], v[1:2], v[66:67]
	v_fma_f64 v[7:8], v[3:4], v[64:65], -v[1:2]
	v_mov_b32_e32 v1, s2
	v_addc_co_u32_e32 v10, vcc, v10, v1, vcc
	ds_write_b128 v230, v[5:8]
	global_load_dwordx4 v[1:4], v[9:10], off
	global_load_dwordx4 v[56:59], v0, s[8:9] offset:272
	v_add_co_u32_e32 v9, vcc, s3, v9
	s_waitcnt vmcnt(0)
	v_mul_f64 v[5:6], v[3:4], v[58:59]
	v_fma_f64 v[5:6], v[1:2], v[56:57], v[5:6]
	v_mul_f64 v[1:2], v[1:2], v[58:59]
	v_fma_f64 v[7:8], v[3:4], v[56:57], -v[1:2]
	v_mov_b32_e32 v1, s2
	v_addc_co_u32_e32 v10, vcc, v10, v1, vcc
	ds_write_b128 v230, v[5:8] offset:272
	global_load_dwordx4 v[1:4], v[9:10], off
	global_load_dwordx4 v[60:63], v0, s[8:9] offset:544
	v_add_co_u32_e32 v9, vcc, s3, v9
	s_waitcnt vmcnt(0)
	v_mul_f64 v[5:6], v[3:4], v[62:63]
	v_fma_f64 v[5:6], v[1:2], v[60:61], v[5:6]
	v_mul_f64 v[1:2], v[1:2], v[62:63]
	v_fma_f64 v[7:8], v[3:4], v[60:61], -v[1:2]
	v_mov_b32_e32 v1, s2
	v_addc_co_u32_e32 v10, vcc, v10, v1, vcc
	ds_write_b128 v230, v[5:8] offset:544
	;; [unrolled: 11-line block ×6, first 2 shown]
	global_load_dwordx4 v[1:4], v[9:10], off
	global_load_dwordx4 v[11:14], v0, s[8:9] offset:1904
	v_add_co_u32_e32 v9, vcc, s3, v9
	s_waitcnt vmcnt(0)
	buffer_store_dword v11, off, s[56:59], 0 offset:56 ; 4-byte Folded Spill
	s_nop 0
	buffer_store_dword v12, off, s[56:59], 0 offset:60 ; 4-byte Folded Spill
	buffer_store_dword v13, off, s[56:59], 0 offset:64 ; 4-byte Folded Spill
	buffer_store_dword v14, off, s[56:59], 0 offset:68 ; 4-byte Folded Spill
	v_mul_f64 v[5:6], v[3:4], v[13:14]
	v_fma_f64 v[5:6], v[1:2], v[11:12], v[5:6]
	v_mul_f64 v[1:2], v[1:2], v[13:14]
	v_fma_f64 v[7:8], v[3:4], v[11:12], -v[1:2]
	v_mov_b32_e32 v1, s2
	v_addc_co_u32_e32 v10, vcc, v10, v1, vcc
	ds_write_b128 v230, v[5:8] offset:1904
	global_load_dwordx4 v[1:4], v[9:10], off
	global_load_dwordx4 v[20:23], v0, s[8:9] offset:2176
	v_add_co_u32_e32 v9, vcc, s3, v9
	s_waitcnt vmcnt(0)
	v_mul_f64 v[5:6], v[3:4], v[22:23]
	v_fma_f64 v[5:6], v[1:2], v[20:21], v[5:6]
	v_mul_f64 v[1:2], v[1:2], v[22:23]
	v_fma_f64 v[7:8], v[3:4], v[20:21], -v[1:2]
	v_mov_b32_e32 v1, s2
	v_addc_co_u32_e32 v10, vcc, v10, v1, vcc
	ds_write_b128 v230, v[5:8] offset:2176
	global_load_dwordx4 v[1:4], v[9:10], off
	global_load_dwordx4 v[24:27], v0, s[8:9] offset:2448
	v_add_co_u32_e32 v9, vcc, s3, v9
	s_waitcnt vmcnt(0)
	;; [unrolled: 11-line block ×5, first 2 shown]
	v_mul_f64 v[5:6], v[3:4], v[34:35]
	v_fma_f64 v[5:6], v[1:2], v[32:33], v[5:6]
	v_mul_f64 v[1:2], v[1:2], v[34:35]
	v_fma_f64 v[7:8], v[3:4], v[32:33], -v[1:2]
	v_mov_b32_e32 v1, s2
	v_addc_co_u32_e32 v10, vcc, v10, v1, vcc
	ds_write_b128 v230, v[5:8] offset:3264
	global_load_dwordx4 v[1:4], v[9:10], off
	global_load_dwordx4 v[11:14], v0, s[8:9] offset:3536
	s_waitcnt vmcnt(0)
	buffer_store_dword v11, off, s[56:59], 0 offset:40 ; 4-byte Folded Spill
	s_nop 0
	buffer_store_dword v12, off, s[56:59], 0 offset:44 ; 4-byte Folded Spill
	buffer_store_dword v13, off, s[56:59], 0 offset:48 ; 4-byte Folded Spill
	;; [unrolled: 1-line block ×3, first 2 shown]
	v_mul_f64 v[5:6], v[3:4], v[13:14]
	v_fma_f64 v[5:6], v[1:2], v[11:12], v[5:6]
	v_mul_f64 v[1:2], v[1:2], v[13:14]
	v_fma_f64 v[7:8], v[3:4], v[11:12], -v[1:2]
	v_add_co_u32_e32 v1, vcc, s3, v9
	v_mov_b32_e32 v2, s2
	v_addc_co_u32_e32 v2, vcc, v10, v2, vcc
	v_add_co_u32_e32 v72, vcc, s3, v1
	ds_write_b128 v230, v[5:8] offset:3536
	global_load_dwordx4 v[8:11], v[1:2], off
	global_load_dwordx4 v[3:6], v0, s[8:9] offset:3808
	v_mov_b32_e32 v1, s2
	v_addc_co_u32_e32 v73, vcc, v2, v1, vcc
	s_waitcnt vmcnt(0)
	buffer_store_dword v3, off, s[56:59], 0 offset:24 ; 4-byte Folded Spill
	s_nop 0
	buffer_store_dword v4, off, s[56:59], 0 offset:28 ; 4-byte Folded Spill
	buffer_store_dword v5, off, s[56:59], 0 offset:32 ; 4-byte Folded Spill
	;; [unrolled: 1-line block ×3, first 2 shown]
	v_mul_f64 v[68:69], v[10:11], v[5:6]
	v_fma_f64 v[68:69], v[8:9], v[3:4], v[68:69]
	v_mul_f64 v[8:9], v[8:9], v[5:6]
	v_fma_f64 v[70:71], v[10:11], v[3:4], -v[8:9]
	ds_write_b128 v230, v[68:71] offset:3808
	global_load_dwordx4 v[68:71], v[72:73], off
	global_load_dwordx4 v[4:7], v0, s[8:9] offset:4080
	s_mov_b32 s8, 0x7c9e640b
	s_mov_b32 s9, 0xbfeca52d
	;; [unrolled: 1-line block ×3, first 2 shown]
	s_waitcnt vmcnt(0)
	buffer_store_dword v4, off, s[56:59], 0 offset:8 ; 4-byte Folded Spill
	s_nop 0
	buffer_store_dword v5, off, s[56:59], 0 offset:12 ; 4-byte Folded Spill
	buffer_store_dword v6, off, s[56:59], 0 offset:16 ; 4-byte Folded Spill
	;; [unrolled: 1-line block ×3, first 2 shown]
	v_mul_f64 v[0:1], v[70:71], v[6:7]
	v_mul_f64 v[2:3], v[68:69], v[6:7]
	v_fma_f64 v[0:1], v[68:69], v[4:5], v[0:1]
	v_fma_f64 v[2:3], v[70:71], v[4:5], -v[2:3]
	ds_write_b128 v230, v[0:3] offset:4080
	v_add_co_u32_e32 v0, vcc, s3, v72
	v_mov_b32_e32 v1, s2
	v_addc_co_u32_e32 v1, vcc, v73, v1, vcc
	s_movk_i32 s2, 0x1000
	v_add_co_u32_e32 v152, vcc, s2, v255
	v_addc_co_u32_e32 v153, vcc, 0, v231, vcc
	global_load_dwordx4 v[68:71], v[0:1], off
	s_mov_b32 s2, 0xeb564b22
	global_load_dwordx4 v[0:3], v[152:153], off offset:256
	s_mov_b32 s3, 0xbfefdd0d
	s_mov_b32 s54, s2
	s_waitcnt vmcnt(0)
	v_mul_f64 v[72:73], v[70:71], v[2:3]
	v_fma_f64 v[72:73], v[68:69], v[0:1], v[72:73]
	v_mul_f64 v[68:69], v[68:69], v[2:3]
	buffer_store_dword v0, off, s[56:59], 0 offset:72 ; 4-byte Folded Spill
	s_nop 0
	buffer_store_dword v1, off, s[56:59], 0 offset:76 ; 4-byte Folded Spill
	buffer_store_dword v2, off, s[56:59], 0 offset:80 ; 4-byte Folded Spill
	;; [unrolled: 1-line block ×3, first 2 shown]
	v_fma_f64 v[74:75], v[70:71], v[0:1], -v[68:69]
	v_mul_lo_u16_e32 v0, 17, v15
	v_lshl_add_u32 v232, v0, 4, v132
	v_lshlrev_b32_e32 v0, 8, v15
	ds_write_b128 v230, v[72:75] offset:4352
	s_waitcnt vmcnt(0) lgkmcnt(0)
	s_barrier
	ds_read_b128 v[128:131], v230
	ds_read_b128 v[133:136], v230 offset:272
	ds_read_b128 v[120:123], v230 offset:544
	;; [unrolled: 1-line block ×16, first 2 shown]
	s_waitcnt lgkmcnt(14)
	v_add_f64 v[68:69], v[128:129], v[133:134]
	v_add_f64 v[70:71], v[130:131], v[135:136]
	s_waitcnt lgkmcnt(0)
	s_barrier
	v_add_f64 v[143:144], v[135:136], v[139:140]
	v_add_f64 v[135:136], v[135:136], -v[139:140]
	v_add_f64 v[141:142], v[133:134], v[137:138]
	v_add_f64 v[133:134], v[133:134], -v[137:138]
	v_add_f64 v[68:69], v[68:69], v[120:121]
	v_add_f64 v[70:71], v[70:71], v[122:123]
	buffer_store_dword v15, off, s[56:59], 0 offset:88 ; 4-byte Folded Spill
	v_mul_f64 v[149:150], v[135:136], s[14:15]
	v_mul_f64 v[160:161], v[135:136], s[8:9]
	;; [unrolled: 1-line block ×3, first 2 shown]
	v_add_f64 v[68:69], v[68:69], v[112:113]
	v_add_f64 v[70:71], v[70:71], v[114:115]
	v_mul_f64 v[176:177], v[135:136], s[18:19]
	v_mul_f64 v[184:185], v[135:136], s[26:27]
	;; [unrolled: 1-line block ×4, first 2 shown]
	v_fma_f64 v[154:155], v[141:142], s[16:17], -v[149:150]
	v_mul_f64 v[156:157], v[133:134], s[14:15]
	v_add_f64 v[68:69], v[68:69], v[104:105]
	v_add_f64 v[70:71], v[70:71], v[106:107]
	v_fma_f64 v[149:150], v[141:142], s[16:17], v[149:150]
	v_fma_f64 v[162:163], v[141:142], s[6:7], -v[160:161]
	v_mul_f64 v[164:165], v[133:134], s[8:9]
	v_fma_f64 v[160:161], v[141:142], s[6:7], v[160:161]
	v_fma_f64 v[170:171], v[141:142], s[4:5], -v[168:169]
	v_mul_f64 v[172:173], v[133:134], s[2:3]
	v_add_f64 v[68:69], v[68:69], v[96:97]
	v_add_f64 v[70:71], v[70:71], v[98:99]
	v_fma_f64 v[168:169], v[141:142], s[4:5], v[168:169]
	v_fma_f64 v[178:179], v[141:142], s[20:21], -v[176:177]
	v_mul_f64 v[180:181], v[133:134], s[18:19]
	v_fma_f64 v[176:177], v[141:142], s[20:21], v[176:177]
	;; [unrolled: 8-line block ×3, first 2 shown]
	v_mul_f64 v[133:134], v[133:134], s[36:37]
	v_fma_f64 v[147:148], v[143:144], s[24:25], v[145:146]
	v_add_f64 v[68:69], v[68:69], v[80:81]
	v_add_f64 v[70:71], v[70:71], v[82:83]
	v_fma_f64 v[145:146], v[143:144], s[24:25], -v[145:146]
	v_add_f64 v[154:155], v[128:129], v[154:155]
	v_fma_f64 v[158:159], v[143:144], s[16:17], v[156:157]
	v_add_f64 v[149:150], v[128:129], v[149:150]
	v_fma_f64 v[156:157], v[143:144], s[16:17], -v[156:157]
	v_add_f64 v[162:163], v[128:129], v[162:163]
	v_add_f64 v[68:69], v[68:69], v[72:73]
	;; [unrolled: 1-line block ×3, first 2 shown]
	v_fma_f64 v[166:167], v[143:144], s[6:7], v[164:165]
	v_add_f64 v[160:161], v[128:129], v[160:161]
	v_fma_f64 v[164:165], v[143:144], s[6:7], -v[164:165]
	v_add_f64 v[170:171], v[128:129], v[170:171]
	v_fma_f64 v[174:175], v[143:144], s[4:5], v[172:173]
	v_add_f64 v[168:169], v[128:129], v[168:169]
	v_add_f64 v[68:69], v[68:69], v[76:77]
	;; [unrolled: 1-line block ×3, first 2 shown]
	v_fma_f64 v[172:173], v[143:144], s[4:5], -v[172:173]
	v_add_f64 v[178:179], v[128:129], v[178:179]
	v_fma_f64 v[182:183], v[143:144], s[20:21], v[180:181]
	v_add_f64 v[176:177], v[128:129], v[176:177]
	v_fma_f64 v[180:181], v[143:144], s[20:21], -v[180:181]
	v_add_f64 v[186:187], v[128:129], v[186:187]
	v_add_f64 v[68:69], v[68:69], v[84:85]
	;; [unrolled: 1-line block ×3, first 2 shown]
	v_fma_f64 v[192:193], v[143:144], s[28:29], v[190:191]
	v_add_f64 v[184:185], v[128:129], v[184:185]
	v_fma_f64 v[190:191], v[143:144], s[28:29], -v[190:191]
	v_add_f64 v[196:197], v[128:129], v[196:197]
	v_fma_f64 v[200:201], v[143:144], s[34:35], v[198:199]
	v_add_f64 v[194:195], v[128:129], v[194:195]
	v_add_f64 v[68:69], v[68:69], v[92:93]
	;; [unrolled: 1-line block ×3, first 2 shown]
	v_fma_f64 v[198:199], v[143:144], s[34:35], -v[198:199]
	v_fma_f64 v[204:205], v[143:144], s[38:39], v[133:134]
	v_fma_f64 v[133:134], v[143:144], s[38:39], -v[133:134]
	v_add_f64 v[147:148], v[130:131], v[147:148]
	v_add_f64 v[145:146], v[130:131], v[145:146]
	;; [unrolled: 1-line block ×23, first 2 shown]
	v_add_f64 v[120:121], v[120:121], -v[124:125]
	v_add_f64 v[68:69], v[68:69], v[124:125]
	v_add_f64 v[70:71], v[70:71], v[126:127]
	;; [unrolled: 1-line block ×3, first 2 shown]
	v_mul_f64 v[137:138], v[135:136], s[22:23]
	v_mul_f64 v[135:136], v[135:136], s[36:37]
	v_add_f64 v[70:71], v[70:71], v[139:140]
	v_fma_f64 v[139:140], v[141:142], s[24:25], -v[137:138]
	v_fma_f64 v[137:138], v[141:142], s[24:25], v[137:138]
	v_fma_f64 v[202:203], v[141:142], s[38:39], -v[135:136]
	v_fma_f64 v[135:136], v[141:142], s[38:39], v[135:136]
	v_add_f64 v[139:140], v[128:129], v[139:140]
	v_add_f64 v[137:138], v[128:129], v[137:138]
	;; [unrolled: 1-line block ×5, first 2 shown]
	v_add_f64 v[122:123], v[122:123], -v[126:127]
	v_mul_f64 v[124:125], v[122:123], s[14:15]
	v_fma_f64 v[126:127], v[133:134], s[16:17], -v[124:125]
	v_fma_f64 v[124:125], v[133:134], s[16:17], v[124:125]
	v_add_f64 v[126:127], v[126:127], v[139:140]
	v_mul_f64 v[139:140], v[120:121], s[14:15]
	v_add_f64 v[124:125], v[124:125], v[137:138]
	v_fma_f64 v[141:142], v[135:136], s[16:17], v[139:140]
	v_fma_f64 v[137:138], v[135:136], s[16:17], -v[139:140]
	v_mul_f64 v[139:140], v[122:123], s[2:3]
	v_add_f64 v[141:142], v[141:142], v[147:148]
	v_add_f64 v[137:138], v[137:138], v[145:146]
	v_fma_f64 v[143:144], v[133:134], s[4:5], -v[139:140]
	v_mul_f64 v[145:146], v[120:121], s[2:3]
	v_fma_f64 v[139:140], v[133:134], s[4:5], v[139:140]
	v_add_f64 v[143:144], v[143:144], v[154:155]
	v_fma_f64 v[147:148], v[135:136], s[4:5], v[145:146]
	v_add_f64 v[139:140], v[139:140], v[149:150]
	v_fma_f64 v[145:146], v[135:136], s[4:5], -v[145:146]
	v_mul_f64 v[149:150], v[122:123], s[26:27]
	v_add_f64 v[147:148], v[147:148], v[158:159]
	v_add_f64 v[145:146], v[145:146], v[156:157]
	v_fma_f64 v[154:155], v[133:134], s[28:29], -v[149:150]
	v_mul_f64 v[156:157], v[120:121], s[26:27]
	v_fma_f64 v[149:150], v[133:134], s[28:29], v[149:150]
	v_add_f64 v[154:155], v[154:155], v[162:163]
	v_fma_f64 v[158:159], v[135:136], s[28:29], v[156:157]
	v_add_f64 v[149:150], v[149:150], v[160:161]
	v_fma_f64 v[156:157], v[135:136], s[28:29], -v[156:157]
	v_mul_f64 v[160:161], v[122:123], s[36:37]
	v_add_f64 v[158:159], v[158:159], v[166:167]
	v_add_f64 v[156:157], v[156:157], v[164:165]
	v_fma_f64 v[162:163], v[133:134], s[38:39], -v[160:161]
	v_mul_f64 v[164:165], v[120:121], s[36:37]
	v_fma_f64 v[160:161], v[133:134], s[38:39], v[160:161]
	v_add_f64 v[162:163], v[162:163], v[170:171]
	v_fma_f64 v[166:167], v[135:136], s[38:39], v[164:165]
	v_add_f64 v[160:161], v[160:161], v[168:169]
	v_fma_f64 v[164:165], v[135:136], s[38:39], -v[164:165]
	v_mul_f64 v[168:169], v[122:123], s[44:45]
	v_add_f64 v[166:167], v[166:167], v[174:175]
	v_add_f64 v[164:165], v[164:165], v[172:173]
	v_fma_f64 v[170:171], v[133:134], s[34:35], -v[168:169]
	v_mul_f64 v[172:173], v[120:121], s[44:45]
	v_fma_f64 v[168:169], v[133:134], s[34:35], v[168:169]
	v_add_f64 v[170:171], v[170:171], v[178:179]
	v_fma_f64 v[174:175], v[135:136], s[34:35], v[172:173]
	v_add_f64 v[168:169], v[168:169], v[176:177]
	v_fma_f64 v[172:173], v[135:136], s[34:35], -v[172:173]
	v_mul_f64 v[176:177], v[122:123], s[40:41]
	v_add_f64 v[174:175], v[174:175], v[182:183]
	v_add_f64 v[172:173], v[172:173], v[180:181]
	v_fma_f64 v[178:179], v[133:134], s[20:21], -v[176:177]
	v_mul_f64 v[180:181], v[120:121], s[40:41]
	v_fma_f64 v[176:177], v[133:134], s[20:21], v[176:177]
	v_add_f64 v[178:179], v[178:179], v[186:187]
	v_fma_f64 v[182:183], v[135:136], s[20:21], v[180:181]
	v_add_f64 v[176:177], v[176:177], v[184:185]
	v_fma_f64 v[180:181], v[135:136], s[20:21], -v[180:181]
	v_mul_f64 v[184:185], v[122:123], s[42:43]
	v_mul_f64 v[122:123], v[122:123], s[46:47]
	v_add_f64 v[182:183], v[182:183], v[192:193]
	v_add_f64 v[180:181], v[180:181], v[190:191]
	v_fma_f64 v[186:187], v[133:134], s[6:7], -v[184:185]
	v_mul_f64 v[190:191], v[120:121], s[42:43]
	v_mul_f64 v[120:121], v[120:121], s[46:47]
	v_fma_f64 v[184:185], v[133:134], s[6:7], v[184:185]
	v_add_f64 v[186:187], v[186:187], v[196:197]
	v_fma_f64 v[192:193], v[135:136], s[6:7], v[190:191]
	v_fma_f64 v[196:197], v[135:136], s[24:25], v[120:121]
	v_fma_f64 v[120:121], v[135:136], s[24:25], -v[120:121]
	v_add_f64 v[184:185], v[184:185], v[194:195]
	v_fma_f64 v[194:195], v[133:134], s[24:25], -v[122:123]
	v_fma_f64 v[122:123], v[133:134], s[24:25], v[122:123]
	v_fma_f64 v[190:191], v[135:136], s[6:7], -v[190:191]
	v_add_f64 v[192:193], v[192:193], v[200:201]
	v_add_f64 v[196:197], v[196:197], v[204:205]
	;; [unrolled: 1-line block ×4, first 2 shown]
	v_add_f64 v[114:115], v[114:115], -v[118:119]
	v_add_f64 v[122:123], v[122:123], v[128:129]
	v_add_f64 v[128:129], v[112:113], v[116:117]
	v_add_f64 v[112:113], v[112:113], -v[116:117]
	v_add_f64 v[194:195], v[194:195], v[202:203]
	v_add_f64 v[190:191], v[190:191], v[198:199]
	v_mul_f64 v[116:117], v[114:115], s[8:9]
	v_fma_f64 v[118:119], v[128:129], s[6:7], -v[116:117]
	v_fma_f64 v[116:117], v[128:129], s[6:7], v[116:117]
	v_add_f64 v[118:119], v[118:119], v[126:127]
	v_mul_f64 v[126:127], v[112:113], s[8:9]
	v_add_f64 v[116:117], v[116:117], v[124:125]
	v_fma_f64 v[133:134], v[130:131], s[6:7], v[126:127]
	v_fma_f64 v[124:125], v[130:131], s[6:7], -v[126:127]
	v_mul_f64 v[126:127], v[114:115], s[26:27]
	v_add_f64 v[133:134], v[133:134], v[141:142]
	v_add_f64 v[124:125], v[124:125], v[137:138]
	v_fma_f64 v[135:136], v[128:129], s[28:29], -v[126:127]
	v_fma_f64 v[126:127], v[128:129], s[28:29], v[126:127]
	v_mul_f64 v[137:138], v[112:113], s[26:27]
	v_add_f64 v[135:136], v[135:136], v[143:144]
	v_add_f64 v[126:127], v[126:127], v[139:140]
	v_mul_f64 v[139:140], v[114:115], s[50:51]
	v_fma_f64 v[141:142], v[130:131], s[28:29], v[137:138]
	v_fma_f64 v[137:138], v[130:131], s[28:29], -v[137:138]
	v_fma_f64 v[143:144], v[128:129], s[38:39], -v[139:140]
	v_fma_f64 v[139:140], v[128:129], s[38:39], v[139:140]
	v_add_f64 v[137:138], v[137:138], v[145:146]
	v_mul_f64 v[145:146], v[112:113], s[50:51]
	v_add_f64 v[141:142], v[141:142], v[147:148]
	v_add_f64 v[143:144], v[143:144], v[154:155]
	v_add_f64 v[139:140], v[139:140], v[149:150]
	v_mul_f64 v[149:150], v[114:115], s[40:41]
	v_fma_f64 v[147:148], v[130:131], s[38:39], v[145:146]
	v_fma_f64 v[145:146], v[130:131], s[38:39], -v[145:146]
	v_fma_f64 v[154:155], v[128:129], s[20:21], -v[149:150]
	v_fma_f64 v[149:150], v[128:129], s[20:21], v[149:150]
	v_add_f64 v[145:146], v[145:146], v[156:157]
	v_mul_f64 v[156:157], v[112:113], s[40:41]
	v_add_f64 v[147:148], v[147:148], v[158:159]
	;; [unrolled: 10-line block ×4, first 2 shown]
	v_add_f64 v[170:171], v[170:171], v[178:179]
	v_add_f64 v[168:169], v[168:169], v[176:177]
	v_mul_f64 v[176:177], v[114:115], s[2:3]
	v_fma_f64 v[174:175], v[130:131], s[24:25], v[172:173]
	v_fma_f64 v[172:173], v[130:131], s[24:25], -v[172:173]
	v_mul_f64 v[114:115], v[114:115], s[30:31]
	v_fma_f64 v[178:179], v[128:129], s[4:5], -v[176:177]
	v_fma_f64 v[176:177], v[128:129], s[4:5], v[176:177]
	v_add_f64 v[172:173], v[172:173], v[180:181]
	v_mul_f64 v[180:181], v[112:113], s[2:3]
	v_mul_f64 v[112:113], v[112:113], s[30:31]
	v_add_f64 v[174:175], v[174:175], v[182:183]
	v_add_f64 v[178:179], v[178:179], v[186:187]
	;; [unrolled: 1-line block ×3, first 2 shown]
	v_fma_f64 v[184:185], v[128:129], s[34:35], -v[114:115]
	v_fma_f64 v[114:115], v[128:129], s[34:35], v[114:115]
	v_fma_f64 v[186:187], v[130:131], s[34:35], v[112:113]
	v_fma_f64 v[112:113], v[130:131], s[34:35], -v[112:113]
	v_fma_f64 v[182:183], v[130:131], s[4:5], v[180:181]
	v_fma_f64 v[180:181], v[130:131], s[4:5], -v[180:181]
	v_add_f64 v[184:185], v[184:185], v[194:195]
	v_add_f64 v[114:115], v[114:115], v[122:123]
	;; [unrolled: 1-line block ×3, first 2 shown]
	v_add_f64 v[106:107], v[106:107], -v[110:111]
	v_add_f64 v[112:113], v[112:113], v[120:121]
	v_add_f64 v[120:121], v[104:105], v[108:109]
	v_add_f64 v[104:105], v[104:105], -v[108:109]
	v_add_f64 v[182:183], v[182:183], v[192:193]
	v_add_f64 v[180:181], v[180:181], v[190:191]
	;; [unrolled: 1-line block ×3, first 2 shown]
	v_mul_f64 v[108:109], v[106:107], s[2:3]
	v_mul_f64 v[130:131], v[104:105], s[36:37]
	v_fma_f64 v[110:111], v[120:121], s[4:5], -v[108:109]
	v_fma_f64 v[108:109], v[120:121], s[4:5], v[108:109]
	v_add_f64 v[110:111], v[110:111], v[118:119]
	v_mul_f64 v[118:119], v[104:105], s[2:3]
	v_add_f64 v[108:109], v[108:109], v[116:117]
	v_fma_f64 v[128:129], v[122:123], s[4:5], v[118:119]
	v_fma_f64 v[116:117], v[122:123], s[4:5], -v[118:119]
	v_mul_f64 v[118:119], v[106:107], s[36:37]
	v_add_f64 v[128:129], v[128:129], v[133:134]
	v_add_f64 v[116:117], v[116:117], v[124:125]
	v_fma_f64 v[124:125], v[120:121], s[38:39], -v[118:119]
	v_fma_f64 v[118:119], v[120:121], s[38:39], v[118:119]
	v_fma_f64 v[133:134], v[122:123], s[38:39], v[130:131]
	v_add_f64 v[124:125], v[124:125], v[135:136]
	v_add_f64 v[118:119], v[118:119], v[126:127]
	v_fma_f64 v[126:127], v[122:123], s[38:39], -v[130:131]
	v_mul_f64 v[130:131], v[106:107], s[40:41]
	v_add_f64 v[133:134], v[133:134], v[141:142]
	v_add_f64 v[126:127], v[126:127], v[137:138]
	v_fma_f64 v[135:136], v[120:121], s[20:21], -v[130:131]
	v_fma_f64 v[130:131], v[120:121], s[20:21], v[130:131]
	v_mul_f64 v[137:138], v[104:105], s[40:41]
	v_add_f64 v[135:136], v[135:136], v[143:144]
	v_add_f64 v[130:131], v[130:131], v[139:140]
	v_mul_f64 v[139:140], v[106:107], s[46:47]
	v_fma_f64 v[141:142], v[122:123], s[20:21], v[137:138]
	v_fma_f64 v[137:138], v[122:123], s[20:21], -v[137:138]
	v_fma_f64 v[143:144], v[120:121], s[24:25], -v[139:140]
	v_fma_f64 v[139:140], v[120:121], s[24:25], v[139:140]
	v_add_f64 v[137:138], v[137:138], v[145:146]
	v_mul_f64 v[145:146], v[104:105], s[46:47]
	v_add_f64 v[141:142], v[141:142], v[147:148]
	v_add_f64 v[143:144], v[143:144], v[154:155]
	v_add_f64 v[139:140], v[139:140], v[149:150]
	v_mul_f64 v[149:150], v[106:107], s[8:9]
	v_fma_f64 v[147:148], v[122:123], s[24:25], v[145:146]
	v_fma_f64 v[145:146], v[122:123], s[24:25], -v[145:146]
	v_fma_f64 v[154:155], v[120:121], s[6:7], -v[149:150]
	v_fma_f64 v[149:150], v[120:121], s[6:7], v[149:150]
	v_add_f64 v[145:146], v[145:146], v[156:157]
	v_mul_f64 v[156:157], v[104:105], s[8:9]
	v_add_f64 v[147:148], v[147:148], v[158:159]
	;; [unrolled: 10-line block ×3, first 2 shown]
	v_add_f64 v[162:163], v[162:163], v[170:171]
	v_add_f64 v[160:161], v[160:161], v[168:169]
	v_mul_f64 v[168:169], v[106:107], s[52:53]
	v_fma_f64 v[166:167], v[122:123], s[34:35], v[164:165]
	v_fma_f64 v[164:165], v[122:123], s[34:35], -v[164:165]
	v_mul_f64 v[106:107], v[106:107], s[48:49]
	v_fma_f64 v[170:171], v[120:121], s[28:29], -v[168:169]
	v_fma_f64 v[168:169], v[120:121], s[28:29], v[168:169]
	v_add_f64 v[164:165], v[164:165], v[172:173]
	v_mul_f64 v[172:173], v[104:105], s[52:53]
	v_mul_f64 v[104:105], v[104:105], s[48:49]
	v_add_f64 v[166:167], v[166:167], v[174:175]
	v_add_f64 v[170:171], v[170:171], v[178:179]
	;; [unrolled: 1-line block ×3, first 2 shown]
	v_fma_f64 v[176:177], v[120:121], s[16:17], -v[106:107]
	v_fma_f64 v[106:107], v[120:121], s[16:17], v[106:107]
	v_fma_f64 v[178:179], v[122:123], s[16:17], v[104:105]
	v_fma_f64 v[104:105], v[122:123], s[16:17], -v[104:105]
	v_fma_f64 v[174:175], v[122:123], s[28:29], v[172:173]
	v_fma_f64 v[172:173], v[122:123], s[28:29], -v[172:173]
	v_add_f64 v[176:177], v[176:177], v[184:185]
	v_add_f64 v[106:107], v[106:107], v[114:115]
	;; [unrolled: 1-line block ×3, first 2 shown]
	v_add_f64 v[98:99], v[98:99], -v[102:103]
	v_add_f64 v[104:105], v[104:105], v[112:113]
	v_add_f64 v[112:113], v[96:97], v[100:101]
	v_add_f64 v[96:97], v[96:97], -v[100:101]
	v_add_f64 v[174:175], v[174:175], v[182:183]
	v_add_f64 v[172:173], v[172:173], v[180:181]
	v_add_f64 v[178:179], v[178:179], v[186:187]
	v_mul_f64 v[100:101], v[98:99], s[18:19]
	v_mul_f64 v[122:123], v[96:97], s[44:45]
	v_fma_f64 v[102:103], v[112:113], s[20:21], -v[100:101]
	v_fma_f64 v[100:101], v[112:113], s[20:21], v[100:101]
	v_add_f64 v[102:103], v[102:103], v[110:111]
	v_mul_f64 v[110:111], v[96:97], s[18:19]
	v_add_f64 v[100:101], v[100:101], v[108:109]
	v_fma_f64 v[120:121], v[114:115], s[20:21], v[110:111]
	v_fma_f64 v[108:109], v[114:115], s[20:21], -v[110:111]
	v_mul_f64 v[110:111], v[98:99], s[44:45]
	v_add_f64 v[120:121], v[120:121], v[128:129]
	v_add_f64 v[108:109], v[108:109], v[116:117]
	v_fma_f64 v[116:117], v[112:113], s[34:35], -v[110:111]
	v_fma_f64 v[110:111], v[112:113], s[34:35], v[110:111]
	v_mul_f64 v[128:129], v[96:97], s[48:49]
	v_add_f64 v[116:117], v[116:117], v[124:125]
	v_fma_f64 v[124:125], v[114:115], s[34:35], v[122:123]
	v_add_f64 v[110:111], v[110:111], v[118:119]
	v_fma_f64 v[118:119], v[114:115], s[34:35], -v[122:123]
	v_mul_f64 v[122:123], v[98:99], s[48:49]
	v_add_f64 v[124:125], v[124:125], v[133:134]
	v_fma_f64 v[133:134], v[114:115], s[16:17], v[128:129]
	v_add_f64 v[118:119], v[118:119], v[126:127]
	v_fma_f64 v[126:127], v[112:113], s[16:17], -v[122:123]
	v_fma_f64 v[122:123], v[112:113], s[16:17], v[122:123]
	v_fma_f64 v[128:129], v[114:115], s[16:17], -v[128:129]
	v_add_f64 v[133:134], v[133:134], v[141:142]
	v_add_f64 v[126:127], v[126:127], v[135:136]
	;; [unrolled: 1-line block ×3, first 2 shown]
	v_mul_f64 v[130:131], v[98:99], s[8:9]
	v_add_f64 v[128:129], v[128:129], v[137:138]
	v_mul_f64 v[137:138], v[96:97], s[8:9]
	v_fma_f64 v[135:136], v[112:113], s[6:7], -v[130:131]
	v_fma_f64 v[130:131], v[112:113], s[6:7], v[130:131]
	v_fma_f64 v[141:142], v[114:115], s[6:7], v[137:138]
	v_fma_f64 v[137:138], v[114:115], s[6:7], -v[137:138]
	v_add_f64 v[135:136], v[135:136], v[143:144]
	v_add_f64 v[130:131], v[130:131], v[139:140]
	v_mul_f64 v[139:140], v[98:99], s[36:37]
	v_add_f64 v[137:138], v[137:138], v[145:146]
	v_mul_f64 v[145:146], v[96:97], s[36:37]
	v_add_f64 v[141:142], v[141:142], v[147:148]
	v_fma_f64 v[143:144], v[112:113], s[38:39], -v[139:140]
	v_fma_f64 v[139:140], v[112:113], s[38:39], v[139:140]
	v_fma_f64 v[147:148], v[114:115], s[38:39], v[145:146]
	v_fma_f64 v[145:146], v[114:115], s[38:39], -v[145:146]
	v_add_f64 v[143:144], v[143:144], v[154:155]
	v_add_f64 v[139:140], v[139:140], v[149:150]
	v_mul_f64 v[149:150], v[98:99], s[54:55]
	v_add_f64 v[145:146], v[145:146], v[156:157]
	v_mul_f64 v[156:157], v[96:97], s[54:55]
	v_add_f64 v[147:148], v[147:148], v[158:159]
	v_fma_f64 v[154:155], v[112:113], s[4:5], -v[149:150]
	v_fma_f64 v[149:150], v[112:113], s[4:5], v[149:150]
	v_fma_f64 v[158:159], v[114:115], s[4:5], v[156:157]
	v_fma_f64 v[156:157], v[114:115], s[4:5], -v[156:157]
	v_add_f64 v[154:155], v[154:155], v[162:163]
	v_add_f64 v[149:150], v[149:150], v[160:161]
	v_mul_f64 v[160:161], v[98:99], s[22:23]
	v_mul_f64 v[98:99], v[98:99], s[26:27]
	v_add_f64 v[156:157], v[156:157], v[164:165]
	v_mul_f64 v[164:165], v[96:97], s[22:23]
	v_mul_f64 v[96:97], v[96:97], s[26:27]
	v_add_f64 v[158:159], v[158:159], v[166:167]
	v_fma_f64 v[162:163], v[112:113], s[24:25], -v[160:161]
	v_fma_f64 v[160:161], v[112:113], s[24:25], v[160:161]
	v_fma_f64 v[166:167], v[114:115], s[24:25], v[164:165]
	v_fma_f64 v[164:165], v[114:115], s[24:25], -v[164:165]
	v_add_f64 v[162:163], v[162:163], v[170:171]
	v_add_f64 v[160:161], v[160:161], v[168:169]
	v_fma_f64 v[168:169], v[112:113], s[28:29], -v[98:99]
	v_fma_f64 v[98:99], v[112:113], s[28:29], v[98:99]
	v_fma_f64 v[170:171], v[114:115], s[28:29], v[96:97]
	v_fma_f64 v[96:97], v[114:115], s[28:29], -v[96:97]
	v_add_f64 v[166:167], v[166:167], v[174:175]
	v_add_f64 v[164:165], v[164:165], v[172:173]
	;; [unrolled: 1-line block ×5, first 2 shown]
	v_add_f64 v[90:91], v[90:91], -v[94:95]
	v_add_f64 v[96:97], v[96:97], v[104:105]
	v_add_f64 v[104:105], v[88:89], v[92:93]
	v_add_f64 v[88:89], v[88:89], -v[92:93]
	v_add_f64 v[170:171], v[170:171], v[178:179]
	v_mul_f64 v[92:93], v[90:91], s[26:27]
	v_mul_f64 v[114:115], v[88:89], s[40:41]
	v_fma_f64 v[94:95], v[104:105], s[28:29], -v[92:93]
	v_fma_f64 v[92:93], v[104:105], s[28:29], v[92:93]
	v_add_f64 v[94:95], v[94:95], v[102:103]
	v_mul_f64 v[102:103], v[88:89], s[26:27]
	v_add_f64 v[92:93], v[92:93], v[100:101]
	v_fma_f64 v[112:113], v[106:107], s[28:29], v[102:103]
	v_fma_f64 v[100:101], v[106:107], s[28:29], -v[102:103]
	v_mul_f64 v[102:103], v[90:91], s[40:41]
	v_add_f64 v[112:113], v[112:113], v[120:121]
	v_add_f64 v[100:101], v[100:101], v[108:109]
	v_fma_f64 v[108:109], v[104:105], s[20:21], -v[102:103]
	v_fma_f64 v[102:103], v[104:105], s[20:21], v[102:103]
	v_mul_f64 v[120:121], v[88:89], s[22:23]
	v_add_f64 v[108:109], v[108:109], v[116:117]
	v_fma_f64 v[116:117], v[106:107], s[20:21], v[114:115]
	v_add_f64 v[102:103], v[102:103], v[110:111]
	v_fma_f64 v[110:111], v[106:107], s[20:21], -v[114:115]
	v_mul_f64 v[114:115], v[90:91], s[22:23]
	v_add_f64 v[116:117], v[116:117], v[124:125]
	v_fma_f64 v[124:125], v[106:107], s[24:25], v[120:121]
	v_add_f64 v[110:111], v[110:111], v[118:119]
	v_fma_f64 v[118:119], v[104:105], s[24:25], -v[114:115]
	v_fma_f64 v[114:115], v[104:105], s[24:25], v[114:115]
	v_fma_f64 v[120:121], v[106:107], s[24:25], -v[120:121]
	v_add_f64 v[124:125], v[124:125], v[133:134]
	v_add_f64 v[118:119], v[118:119], v[126:127]
	v_add_f64 v[114:115], v[114:115], v[122:123]
	v_mul_f64 v[122:123], v[90:91], s[30:31]
	v_add_f64 v[120:121], v[120:121], v[128:129]
	v_mul_f64 v[128:129], v[88:89], s[30:31]
	v_fma_f64 v[126:127], v[104:105], s[34:35], -v[122:123]
	v_fma_f64 v[122:123], v[104:105], s[34:35], v[122:123]
	v_fma_f64 v[133:134], v[106:107], s[34:35], v[128:129]
	v_fma_f64 v[128:129], v[106:107], s[34:35], -v[128:129]
	v_add_f64 v[126:127], v[126:127], v[135:136]
	v_add_f64 v[122:123], v[122:123], v[130:131]
	v_mul_f64 v[130:131], v[90:91], s[54:55]
	v_add_f64 v[128:129], v[128:129], v[137:138]
	v_mul_f64 v[137:138], v[88:89], s[54:55]
	v_add_f64 v[133:134], v[133:134], v[141:142]
	v_fma_f64 v[135:136], v[104:105], s[4:5], -v[130:131]
	v_fma_f64 v[130:131], v[104:105], s[4:5], v[130:131]
	v_fma_f64 v[141:142], v[106:107], s[4:5], v[137:138]
	v_fma_f64 v[137:138], v[106:107], s[4:5], -v[137:138]
	v_add_f64 v[135:136], v[135:136], v[143:144]
	v_add_f64 v[130:131], v[130:131], v[139:140]
	v_mul_f64 v[139:140], v[90:91], s[14:15]
	v_add_f64 v[137:138], v[137:138], v[145:146]
	v_mul_f64 v[145:146], v[88:89], s[14:15]
	v_add_f64 v[141:142], v[141:142], v[147:148]
	v_fma_f64 v[143:144], v[104:105], s[16:17], -v[139:140]
	v_fma_f64 v[139:140], v[104:105], s[16:17], v[139:140]
	v_fma_f64 v[147:148], v[106:107], s[16:17], v[145:146]
	v_fma_f64 v[145:146], v[106:107], s[16:17], -v[145:146]
	v_add_f64 v[143:144], v[143:144], v[154:155]
	v_add_f64 v[139:140], v[139:140], v[149:150]
	v_mul_f64 v[149:150], v[90:91], s[36:37]
	v_mul_f64 v[90:91], v[90:91], s[42:43]
	v_add_f64 v[145:146], v[145:146], v[156:157]
	v_mul_f64 v[156:157], v[88:89], s[36:37]
	v_mul_f64 v[88:89], v[88:89], s[42:43]
	v_add_f64 v[147:148], v[147:148], v[158:159]
	v_fma_f64 v[154:155], v[104:105], s[38:39], -v[149:150]
	v_fma_f64 v[149:150], v[104:105], s[38:39], v[149:150]
	v_fma_f64 v[158:159], v[106:107], s[38:39], v[156:157]
	v_fma_f64 v[156:157], v[106:107], s[38:39], -v[156:157]
	v_add_f64 v[154:155], v[154:155], v[162:163]
	v_add_f64 v[149:150], v[149:150], v[160:161]
	v_fma_f64 v[160:161], v[104:105], s[6:7], -v[90:91]
	v_fma_f64 v[90:91], v[104:105], s[6:7], v[90:91]
	v_fma_f64 v[162:163], v[106:107], s[6:7], v[88:89]
	v_fma_f64 v[88:89], v[106:107], s[6:7], -v[88:89]
	v_add_f64 v[158:159], v[158:159], v[166:167]
	v_add_f64 v[166:167], v[74:75], -v[78:79]
	v_add_f64 v[156:157], v[156:157], v[164:165]
	v_add_f64 v[164:165], v[72:73], -v[76:77]
	v_add_f64 v[160:161], v[160:161], v[168:169]
	v_add_f64 v[90:91], v[90:91], v[98:99]
	;; [unrolled: 1-line block ×3, first 2 shown]
	v_add_f64 v[82:83], v[82:83], -v[86:87]
	v_add_f64 v[88:89], v[88:89], v[96:97]
	v_add_f64 v[96:97], v[80:81], v[84:85]
	v_add_f64 v[80:81], v[80:81], -v[84:85]
	v_add_f64 v[162:163], v[162:163], v[170:171]
	v_mul_f64 v[84:85], v[82:83], s[30:31]
	v_mul_f64 v[106:107], v[80:81], s[42:43]
	v_fma_f64 v[86:87], v[96:97], s[34:35], -v[84:85]
	v_fma_f64 v[84:85], v[96:97], s[34:35], v[84:85]
	v_add_f64 v[86:87], v[86:87], v[94:95]
	v_mul_f64 v[94:95], v[80:81], s[30:31]
	v_add_f64 v[84:85], v[84:85], v[92:93]
	v_fma_f64 v[104:105], v[98:99], s[34:35], v[94:95]
	v_fma_f64 v[92:93], v[98:99], s[34:35], -v[94:95]
	v_mul_f64 v[94:95], v[82:83], s[42:43]
	v_add_f64 v[104:105], v[104:105], v[112:113]
	v_add_f64 v[92:93], v[92:93], v[100:101]
	v_fma_f64 v[100:101], v[96:97], s[6:7], -v[94:95]
	v_fma_f64 v[94:95], v[96:97], s[6:7], v[94:95]
	v_mul_f64 v[112:113], v[80:81], s[2:3]
	v_add_f64 v[100:101], v[100:101], v[108:109]
	v_fma_f64 v[108:109], v[98:99], s[6:7], v[106:107]
	v_add_f64 v[94:95], v[94:95], v[102:103]
	v_fma_f64 v[102:103], v[98:99], s[6:7], -v[106:107]
	v_mul_f64 v[106:107], v[82:83], s[2:3]
	v_add_f64 v[108:109], v[108:109], v[116:117]
	v_fma_f64 v[116:117], v[98:99], s[4:5], v[112:113]
	v_add_f64 v[102:103], v[102:103], v[110:111]
	v_fma_f64 v[110:111], v[96:97], s[4:5], -v[106:107]
	v_fma_f64 v[106:107], v[96:97], s[4:5], v[106:107]
	v_fma_f64 v[112:113], v[98:99], s[4:5], -v[112:113]
	v_add_f64 v[116:117], v[116:117], v[124:125]
	v_add_f64 v[110:111], v[110:111], v[118:119]
	;; [unrolled: 1-line block ×3, first 2 shown]
	v_mul_f64 v[114:115], v[82:83], s[52:53]
	v_add_f64 v[112:113], v[112:113], v[120:121]
	v_mul_f64 v[120:121], v[80:81], s[52:53]
	v_fma_f64 v[118:119], v[96:97], s[28:29], -v[114:115]
	v_fma_f64 v[114:115], v[96:97], s[28:29], v[114:115]
	v_fma_f64 v[124:125], v[98:99], s[28:29], v[120:121]
	v_fma_f64 v[120:121], v[98:99], s[28:29], -v[120:121]
	v_add_f64 v[118:119], v[118:119], v[126:127]
	v_add_f64 v[114:115], v[114:115], v[122:123]
	v_mul_f64 v[122:123], v[82:83], s[22:23]
	v_add_f64 v[120:121], v[120:121], v[128:129]
	v_mul_f64 v[128:129], v[80:81], s[22:23]
	v_add_f64 v[124:125], v[124:125], v[133:134]
	v_fma_f64 v[126:127], v[96:97], s[24:25], -v[122:123]
	v_fma_f64 v[122:123], v[96:97], s[24:25], v[122:123]
	v_fma_f64 v[133:134], v[98:99], s[24:25], v[128:129]
	v_fma_f64 v[128:129], v[98:99], s[24:25], -v[128:129]
	v_add_f64 v[126:127], v[126:127], v[135:136]
	v_add_f64 v[122:123], v[122:123], v[130:131]
	v_mul_f64 v[130:131], v[82:83], s[36:37]
	v_add_f64 v[128:129], v[128:129], v[137:138]
	v_mul_f64 v[137:138], v[80:81], s[36:37]
	v_add_f64 v[133:134], v[133:134], v[141:142]
	v_fma_f64 v[135:136], v[96:97], s[38:39], -v[130:131]
	v_fma_f64 v[130:131], v[96:97], s[38:39], v[130:131]
	v_fma_f64 v[141:142], v[98:99], s[38:39], v[137:138]
	v_fma_f64 v[137:138], v[98:99], s[38:39], -v[137:138]
	v_add_f64 v[135:136], v[135:136], v[143:144]
	v_add_f64 v[130:131], v[130:131], v[139:140]
	v_mul_f64 v[139:140], v[82:83], s[48:49]
	v_mul_f64 v[82:83], v[82:83], s[18:19]
	v_add_f64 v[137:138], v[137:138], v[145:146]
	v_mul_f64 v[145:146], v[80:81], s[48:49]
	v_mul_f64 v[80:81], v[80:81], s[18:19]
	v_add_f64 v[141:142], v[141:142], v[147:148]
	v_fma_f64 v[143:144], v[96:97], s[16:17], -v[139:140]
	v_fma_f64 v[139:140], v[96:97], s[16:17], v[139:140]
	v_fma_f64 v[147:148], v[98:99], s[16:17], v[145:146]
	v_fma_f64 v[145:146], v[98:99], s[16:17], -v[145:146]
	v_add_f64 v[143:144], v[143:144], v[154:155]
	v_add_f64 v[139:140], v[139:140], v[149:150]
	v_fma_f64 v[149:150], v[96:97], s[20:21], -v[82:83]
	v_fma_f64 v[154:155], v[98:99], s[20:21], v[80:81]
	v_fma_f64 v[80:81], v[98:99], s[20:21], -v[80:81]
	v_add_f64 v[147:148], v[147:148], v[158:159]
	v_fma_f64 v[82:83], v[96:97], s[20:21], v[82:83]
	v_add_f64 v[145:146], v[145:146], v[156:157]
	v_add_f64 v[149:150], v[149:150], v[160:161]
	;; [unrolled: 1-line block ×3, first 2 shown]
	v_mul_f64 v[76:77], v[166:167], s[36:37]
	v_add_f64 v[154:155], v[154:155], v[162:163]
	v_add_f64 v[162:163], v[74:75], v[78:79]
	v_mul_f64 v[78:79], v[164:165], s[36:37]
	v_add_f64 v[158:159], v[80:81], v[88:89]
	v_add_f64 v[156:157], v[82:83], v[90:91]
	v_fma_f64 v[72:73], v[160:161], s[38:39], -v[76:77]
	v_fma_f64 v[76:77], v[160:161], s[38:39], v[76:77]
	v_fma_f64 v[74:75], v[162:163], s[38:39], v[78:79]
	v_fma_f64 v[78:79], v[162:163], s[38:39], -v[78:79]
	v_add_f64 v[72:73], v[72:73], v[86:87]
	v_add_f64 v[76:77], v[76:77], v[84:85]
	v_mul_f64 v[84:85], v[166:167], s[46:47]
	v_mul_f64 v[86:87], v[164:165], s[46:47]
	v_add_f64 v[78:79], v[78:79], v[92:93]
	v_mul_f64 v[92:93], v[166:167], s[30:31]
	v_add_f64 v[74:75], v[74:75], v[104:105]
	v_fma_f64 v[80:81], v[160:161], s[24:25], -v[84:85]
	v_fma_f64 v[84:85], v[160:161], s[24:25], v[84:85]
	v_fma_f64 v[82:83], v[162:163], s[24:25], v[86:87]
	v_fma_f64 v[86:87], v[162:163], s[24:25], -v[86:87]
	v_fma_f64 v[88:89], v[160:161], s[34:35], -v[92:93]
	v_fma_f64 v[92:93], v[160:161], s[34:35], v[92:93]
	v_add_f64 v[80:81], v[80:81], v[100:101]
	v_add_f64 v[84:85], v[84:85], v[94:95]
	v_mul_f64 v[94:95], v[164:165], s[30:31]
	v_mul_f64 v[100:101], v[166:167], s[48:49]
	v_add_f64 v[82:83], v[82:83], v[108:109]
	v_add_f64 v[86:87], v[86:87], v[102:103]
	;; [unrolled: 1-line block ×3, first 2 shown]
	v_mul_f64 v[102:103], v[164:165], s[48:49]
	v_mul_f64 v[108:109], v[166:167], s[26:27]
	;; [unrolled: 1-line block ×3, first 2 shown]
	v_fma_f64 v[90:91], v[162:163], s[34:35], v[94:95]
	v_fma_f64 v[94:95], v[162:163], s[34:35], -v[94:95]
	v_fma_f64 v[96:97], v[160:161], s[16:17], -v[100:101]
	v_add_f64 v[92:93], v[92:93], v[106:107]
	v_fma_f64 v[100:101], v[160:161], s[16:17], v[100:101]
	v_fma_f64 v[98:99], v[162:163], s[16:17], v[102:103]
	v_fma_f64 v[104:105], v[160:161], s[28:29], -v[108:109]
	v_fma_f64 v[106:107], v[162:163], s[28:29], v[110:111]
	v_add_f64 v[90:91], v[90:91], v[116:117]
	v_mul_f64 v[116:117], v[166:167], s[42:43]
	v_add_f64 v[94:95], v[94:95], v[112:113]
	v_add_f64 v[96:97], v[96:97], v[118:119]
	v_mul_f64 v[118:119], v[164:165], s[42:43]
	v_add_f64 v[98:99], v[98:99], v[124:125]
	v_fma_f64 v[102:103], v[162:163], s[16:17], -v[102:103]
	v_add_f64 v[104:105], v[104:105], v[126:127]
	v_add_f64 v[106:107], v[106:107], v[133:134]
	v_fma_f64 v[112:113], v[160:161], s[6:7], -v[116:117]
	v_fma_f64 v[108:109], v[160:161], s[28:29], v[108:109]
	v_fma_f64 v[110:111], v[162:163], s[28:29], -v[110:111]
	v_fma_f64 v[116:117], v[160:161], s[6:7], v[116:117]
	v_mul_f64 v[124:125], v[166:167], s[18:19]
	v_mul_f64 v[126:127], v[164:165], s[18:19]
	;; [unrolled: 1-line block ×3, first 2 shown]
	v_add_f64 v[100:101], v[100:101], v[114:115]
	v_add_f64 v[112:113], v[112:113], v[135:136]
	v_mul_f64 v[135:136], v[164:165], s[54:55]
	v_fma_f64 v[114:115], v[162:163], s[6:7], v[118:119]
	v_add_f64 v[102:103], v[102:103], v[120:121]
	v_add_f64 v[108:109], v[108:109], v[122:123]
	;; [unrolled: 1-line block ×4, first 2 shown]
	v_fma_f64 v[118:119], v[162:163], s[6:7], -v[118:119]
	v_fma_f64 v[120:121], v[160:161], s[20:21], -v[124:125]
	v_fma_f64 v[122:123], v[162:163], s[20:21], v[126:127]
	v_fma_f64 v[128:129], v[160:161], s[4:5], -v[133:134]
	v_fma_f64 v[130:131], v[162:163], s[4:5], v[135:136]
	v_fma_f64 v[133:134], v[160:161], s[4:5], v[133:134]
	v_fma_f64 v[135:136], v[162:163], s[4:5], -v[135:136]
	v_fma_f64 v[124:125], v[160:161], s[20:21], v[124:125]
	v_fma_f64 v[126:127], v[162:163], s[20:21], -v[126:127]
	v_add_f64 v[114:115], v[114:115], v[141:142]
	v_add_f64 v[118:119], v[118:119], v[137:138]
	;; [unrolled: 1-line block ×10, first 2 shown]
	ds_write_b128 v232, v[68:71]
	ds_write_b128 v232, v[72:75] offset:16
	ds_write_b128 v232, v[80:83] offset:32
	;; [unrolled: 1-line block ×16, first 2 shown]
	s_waitcnt vmcnt(0) lgkmcnt(0)
	s_barrier
	ds_read_b128 v[136:139], v230
	ds_read_b128 v[80:83], v230 offset:272
	ds_read_b128 v[84:87], v230 offset:544
	;; [unrolled: 1-line block ×16, first 2 shown]
	global_load_dwordx4 v[68:71], v0, s[10:11] offset:48
	global_load_dwordx4 v[72:75], v0, s[10:11] offset:32
	;; [unrolled: 1-line block ×3, first 2 shown]
	global_load_dwordx4 v[92:95], v0, s[10:11]
	s_waitcnt vmcnt(0) lgkmcnt(14)
	v_mul_f64 v[108:109], v[82:83], v[94:95]
	v_fma_f64 v[204:205], v[80:81], v[92:93], -v[108:109]
	v_mul_f64 v[80:81], v[80:81], v[94:95]
	v_fma_f64 v[202:203], v[82:83], v[92:93], v[80:81]
	v_mul_f64 v[80:81], v[86:87], v[78:79]
	v_fma_f64 v[198:199], v[84:85], v[76:77], -v[80:81]
	v_mul_f64 v[80:81], v[84:85], v[78:79]
	v_fma_f64 v[196:197], v[86:87], v[76:77], v[80:81]
	s_waitcnt lgkmcnt(13)
	v_mul_f64 v[80:81], v[90:91], v[74:75]
	v_fma_f64 v[194:195], v[88:89], v[72:73], -v[80:81]
	v_mul_f64 v[80:81], v[88:89], v[74:75]
	v_fma_f64 v[192:193], v[90:91], v[72:73], v[80:81]
	s_waitcnt lgkmcnt(12)
	v_mul_f64 v[80:81], v[98:99], v[70:71]
	v_fma_f64 v[184:185], v[96:97], v[68:69], -v[80:81]
	v_mul_f64 v[80:81], v[96:97], v[70:71]
	v_fma_f64 v[182:183], v[98:99], v[68:69], v[80:81]
	global_load_dwordx4 v[80:83], v0, s[10:11] offset:112
	global_load_dwordx4 v[84:87], v0, s[10:11] offset:96
	;; [unrolled: 1-line block ×4, first 2 shown]
	s_waitcnt vmcnt(0) lgkmcnt(11)
	v_mul_f64 v[96:97], v[102:103], v[110:111]
	v_fma_f64 v[180:181], v[100:101], v[108:109], -v[96:97]
	v_mul_f64 v[96:97], v[100:101], v[110:111]
	v_fma_f64 v[178:179], v[102:103], v[108:109], v[96:97]
	s_waitcnt lgkmcnt(10)
	v_mul_f64 v[96:97], v[106:107], v[90:91]
	v_fma_f64 v[172:173], v[104:105], v[88:89], -v[96:97]
	v_mul_f64 v[96:97], v[104:105], v[90:91]
	v_fma_f64 v[170:171], v[106:107], v[88:89], v[96:97]
	s_waitcnt lgkmcnt(9)
	v_mul_f64 v[96:97], v[114:115], v[86:87]
	v_fma_f64 v[164:165], v[112:113], v[84:85], -v[96:97]
	v_mul_f64 v[96:97], v[112:113], v[86:87]
	v_fma_f64 v[162:163], v[114:115], v[84:85], v[96:97]
	s_waitcnt lgkmcnt(8)
	v_mul_f64 v[96:97], v[118:119], v[82:83]
	v_fma_f64 v[156:157], v[116:117], v[80:81], -v[96:97]
	v_mul_f64 v[96:97], v[116:117], v[82:83]
	v_fma_f64 v[154:155], v[118:119], v[80:81], v[96:97]
	global_load_dwordx4 v[96:99], v0, s[10:11] offset:176
	global_load_dwordx4 v[100:103], v0, s[10:11] offset:160
	;; [unrolled: 1-line block ×4, first 2 shown]
	s_waitcnt vmcnt(0) lgkmcnt(7)
	v_mul_f64 v[112:113], v[122:123], v[126:127]
	v_fma_f64 v[160:161], v[120:121], v[124:125], -v[112:113]
	v_mul_f64 v[112:113], v[120:121], v[126:127]
	v_fma_f64 v[158:159], v[122:123], v[124:125], v[112:113]
	s_waitcnt lgkmcnt(6)
	v_mul_f64 v[112:113], v[130:131], v[106:107]
	v_fma_f64 v[168:169], v[128:129], v[104:105], -v[112:113]
	v_mul_f64 v[112:113], v[128:129], v[106:107]
	v_fma_f64 v[166:167], v[130:131], v[104:105], v[112:113]
	s_waitcnt lgkmcnt(5)
	;; [unrolled: 5-line block ×3, first 2 shown]
	v_mul_f64 v[112:113], v[214:215], v[98:99]
	v_fma_f64 v[190:191], v[212:213], v[96:97], -v[112:113]
	v_mul_f64 v[112:113], v[212:213], v[98:99]
	v_fma_f64 v[186:187], v[214:215], v[96:97], v[112:113]
	global_load_dwordx4 v[112:115], v0, s[10:11] offset:240
	global_load_dwordx4 v[116:119], v0, s[10:11] offset:224
	;; [unrolled: 1-line block ×4, first 2 shown]
	s_movk_i32 s10, 0x1210
	s_waitcnt vmcnt(0) lgkmcnt(3)
	v_mul_f64 v[200:201], v[150:151], v[130:131]
	v_fma_f64 v[200:201], v[148:149], v[128:129], -v[200:201]
	v_mul_f64 v[148:149], v[148:149], v[130:131]
	v_fma_f64 v[148:149], v[150:151], v[128:129], v[148:149]
	s_waitcnt lgkmcnt(2)
	v_mul_f64 v[150:151], v[146:147], v[122:123]
	v_fma_f64 v[150:151], v[144:145], v[120:121], -v[150:151]
	v_mul_f64 v[144:145], v[144:145], v[122:123]
	v_fma_f64 v[144:145], v[146:147], v[120:121], v[144:145]
	s_waitcnt lgkmcnt(1)
	;; [unrolled: 5-line block ×3, first 2 shown]
	v_mul_f64 v[142:143], v[134:135], v[114:115]
	v_fma_f64 v[142:143], v[132:133], v[112:113], -v[142:143]
	v_mul_f64 v[132:133], v[132:133], v[114:115]
	v_add_f64 v[210:211], v[204:205], v[142:143]
	v_fma_f64 v[208:209], v[134:135], v[112:113], v[132:133]
	v_add_f64 v[132:133], v[136:137], v[204:205]
	v_add_f64 v[134:135], v[138:139], v[202:203]
	;; [unrolled: 1-line block ×5, first 2 shown]
	v_add_f64 v[202:203], v[202:203], -v[208:209]
	v_add_f64 v[132:133], v[132:133], v[194:195]
	v_add_f64 v[134:135], v[134:135], v[192:193]
	v_mul_f64 v[253:254], v[202:203], s[26:27]
	v_mul_f64 v[218:219], v[202:203], s[14:15]
	;; [unrolled: 1-line block ×5, first 2 shown]
	v_add_f64 v[132:133], v[132:133], v[184:185]
	v_add_f64 v[134:135], v[134:135], v[182:183]
	v_fma_f64 v[188:189], v[210:211], s[28:29], -v[253:254]
	v_fma_f64 v[2:3], v[210:211], s[28:29], v[253:254]
	v_mul_f64 v[253:254], v[202:203], s[30:31]
	v_fma_f64 v[220:221], v[210:211], s[16:17], -v[218:219]
	v_fma_f64 v[218:219], v[210:211], s[16:17], v[218:219]
	v_fma_f64 v[228:229], v[210:211], s[6:7], -v[226:227]
	v_add_f64 v[132:133], v[132:133], v[180:181]
	v_add_f64 v[134:135], v[134:135], v[178:179]
	v_fma_f64 v[226:227], v[210:211], s[6:7], v[226:227]
	v_fma_f64 v[239:240], v[210:211], s[4:5], -v[237:238]
	v_fma_f64 v[237:238], v[210:211], s[4:5], v[237:238]
	v_fma_f64 v[247:248], v[210:211], s[20:21], -v[245:246]
	v_fma_f64 v[245:246], v[210:211], s[20:21], v[245:246]
	v_fma_f64 v[4:5], v[210:211], s[34:35], -v[253:254]
	v_add_f64 v[132:133], v[132:133], v[172:173]
	v_add_f64 v[134:135], v[134:135], v[170:171]
	v_fma_f64 v[10:11], v[210:211], s[34:35], v[253:254]
	v_add_f64 v[220:221], v[136:137], v[220:221]
	v_add_f64 v[218:219], v[136:137], v[218:219]
	;; [unrolled: 1-line block ×31, first 2 shown]
	v_add_f64 v[142:143], v[204:205], -v[142:143]
	v_mul_f64 v[204:205], v[202:203], s[22:23]
	v_mul_f64 v[202:203], v[202:203], s[36:37]
	v_add_f64 v[134:135], v[134:135], v[208:209]
	v_mul_f64 v[214:215], v[142:143], s[22:23]
	v_fma_f64 v[208:209], v[210:211], s[24:25], -v[204:205]
	v_fma_f64 v[204:205], v[210:211], s[24:25], v[204:205]
	v_mul_f64 v[222:223], v[142:143], s[14:15]
	v_mul_f64 v[233:234], v[142:143], s[8:9]
	;; [unrolled: 1-line block ×6, first 2 shown]
	v_fma_f64 v[253:254], v[210:211], s[38:39], -v[202:203]
	v_mul_f64 v[142:143], v[142:143], s[36:37]
	v_fma_f64 v[14:15], v[210:211], s[38:39], v[202:203]
	v_add_f64 v[208:209], v[136:137], v[208:209]
	v_fma_f64 v[216:217], v[212:213], s[24:25], v[214:215]
	v_add_f64 v[204:205], v[136:137], v[204:205]
	v_fma_f64 v[214:215], v[212:213], s[24:25], -v[214:215]
	v_fma_f64 v[224:225], v[212:213], s[16:17], v[222:223]
	v_fma_f64 v[222:223], v[212:213], s[16:17], -v[222:223]
	v_fma_f64 v[235:236], v[212:213], s[6:7], v[233:234]
	;; [unrolled: 2-line block ×6, first 2 shown]
	v_fma_f64 v[6:7], v[212:213], s[34:35], -v[6:7]
	v_add_f64 v[253:254], v[136:137], v[253:254]
	v_fma_f64 v[12:13], v[212:213], s[38:39], v[142:143]
	v_add_f64 v[14:15], v[136:137], v[14:15]
	v_fma_f64 v[136:137], v[212:213], s[38:39], -v[142:143]
	v_add_f64 v[142:143], v[196:197], v[140:141]
	v_add_f64 v[140:141], v[196:197], -v[140:141]
	v_add_f64 v[216:217], v[138:139], v[216:217]
	v_add_f64 v[214:215], v[138:139], v[214:215]
	;; [unrolled: 1-line block ×17, first 2 shown]
	v_add_f64 v[146:147], v[198:199], -v[146:147]
	v_mul_f64 v[196:197], v[140:141], s[14:15]
	v_mul_f64 v[202:203], v[146:147], s[14:15]
	v_fma_f64 v[198:199], v[138:139], s[16:17], -v[196:197]
	v_fma_f64 v[196:197], v[138:139], s[16:17], v[196:197]
	v_mul_f64 v[212:213], v[146:147], s[2:3]
	v_add_f64 v[198:199], v[198:199], v[208:209]
	v_fma_f64 v[208:209], v[142:143], s[16:17], v[202:203]
	v_add_f64 v[196:197], v[196:197], v[204:205]
	v_mul_f64 v[204:205], v[140:141], s[2:3]
	v_fma_f64 v[202:203], v[142:143], s[16:17], -v[202:203]
	v_add_f64 v[208:209], v[208:209], v[216:217]
	v_mul_f64 v[216:217], v[140:141], s[26:27]
	v_fma_f64 v[210:211], v[138:139], s[4:5], -v[204:205]
	v_fma_f64 v[204:205], v[138:139], s[4:5], v[204:205]
	v_add_f64 v[202:203], v[202:203], v[214:215]
	v_fma_f64 v[214:215], v[142:143], s[4:5], v[212:213]
	v_fma_f64 v[212:213], v[142:143], s[4:5], -v[212:213]
	v_add_f64 v[210:211], v[210:211], v[220:221]
	v_add_f64 v[204:205], v[204:205], v[218:219]
	v_fma_f64 v[218:219], v[138:139], s[28:29], -v[216:217]
	v_mul_f64 v[220:221], v[146:147], s[26:27]
	v_add_f64 v[214:215], v[214:215], v[224:225]
	v_add_f64 v[212:213], v[212:213], v[222:223]
	v_fma_f64 v[216:217], v[138:139], s[28:29], v[216:217]
	v_mul_f64 v[224:225], v[140:141], s[36:37]
	v_add_f64 v[218:219], v[218:219], v[228:229]
	v_fma_f64 v[222:223], v[142:143], s[28:29], v[220:221]
	v_fma_f64 v[220:221], v[142:143], s[28:29], -v[220:221]
	v_mul_f64 v[228:229], v[146:147], s[36:37]
	v_add_f64 v[216:217], v[216:217], v[226:227]
	v_fma_f64 v[226:227], v[138:139], s[38:39], -v[224:225]
	v_fma_f64 v[224:225], v[138:139], s[38:39], v[224:225]
	v_add_f64 v[222:223], v[222:223], v[235:236]
	v_add_f64 v[220:221], v[220:221], v[233:234]
	v_fma_f64 v[233:234], v[142:143], s[38:39], v[228:229]
	v_mul_f64 v[235:236], v[140:141], s[44:45]
	v_add_f64 v[226:227], v[226:227], v[239:240]
	v_add_f64 v[224:225], v[224:225], v[237:238]
	v_mul_f64 v[239:240], v[146:147], s[44:45]
	v_fma_f64 v[228:229], v[142:143], s[38:39], -v[228:229]
	v_add_f64 v[233:234], v[233:234], v[243:244]
	v_fma_f64 v[237:238], v[138:139], s[34:35], -v[235:236]
	v_fma_f64 v[235:236], v[138:139], s[34:35], v[235:236]
	v_mul_f64 v[243:244], v[140:141], s[40:41]
	v_add_f64 v[228:229], v[228:229], v[241:242]
	v_fma_f64 v[241:242], v[142:143], s[34:35], v[239:240]
	v_fma_f64 v[239:240], v[142:143], s[34:35], -v[239:240]
	v_add_f64 v[237:238], v[237:238], v[247:248]
	v_add_f64 v[235:236], v[235:236], v[245:246]
	v_fma_f64 v[245:246], v[138:139], s[20:21], -v[243:244]
	v_fma_f64 v[243:244], v[138:139], s[20:21], v[243:244]
	v_add_f64 v[241:242], v[241:242], v[251:252]
	v_add_f64 v[239:240], v[239:240], v[249:250]
	;; [unrolled: 1-line block ×3, first 2 shown]
	v_mul_f64 v[245:246], v[146:147], s[40:41]
	v_add_f64 v[2:3], v[243:244], v[2:3]
	v_fma_f64 v[243:244], v[142:143], s[20:21], -v[245:246]
	v_fma_f64 v[247:248], v[142:143], s[20:21], v[245:246]
	v_add_f64 v[206:207], v[243:244], v[206:207]
	v_mul_f64 v[243:244], v[140:141], s[42:43]
	v_mul_f64 v[140:141], v[140:141], s[46:47]
	v_add_f64 v[0:1], v[247:248], v[0:1]
	v_fma_f64 v[245:246], v[138:139], s[6:7], -v[243:244]
	v_fma_f64 v[243:244], v[138:139], s[6:7], v[243:244]
	v_add_f64 v[4:5], v[245:246], v[4:5]
	v_mul_f64 v[245:246], v[146:147], s[42:43]
	v_add_f64 v[10:11], v[243:244], v[10:11]
	v_mul_f64 v[146:147], v[146:147], s[46:47]
	v_fma_f64 v[243:244], v[142:143], s[6:7], -v[245:246]
	v_fma_f64 v[247:248], v[142:143], s[6:7], v[245:246]
	v_fma_f64 v[245:246], v[142:143], s[24:25], v[146:147]
	v_add_f64 v[6:7], v[243:244], v[6:7]
	v_fma_f64 v[243:244], v[138:139], s[24:25], -v[140:141]
	v_fma_f64 v[138:139], v[138:139], s[24:25], v[140:141]
	v_add_f64 v[140:141], v[192:193], v[144:145]
	v_add_f64 v[144:145], v[192:193], -v[144:145]
	v_add_f64 v[12:13], v[245:246], v[12:13]
	v_add_f64 v[8:9], v[247:248], v[8:9]
	;; [unrolled: 1-line block ×4, first 2 shown]
	v_fma_f64 v[138:139], v[142:143], s[24:25], -v[146:147]
	v_mul_f64 v[146:147], v[144:145], s[8:9]
	v_add_f64 v[142:143], v[194:195], -v[150:151]
	v_add_f64 v[136:137], v[138:139], v[136:137]
	v_add_f64 v[138:139], v[194:195], v[150:151]
	v_mul_f64 v[192:193], v[142:143], s[8:9]
	v_fma_f64 v[150:151], v[138:139], s[6:7], -v[146:147]
	v_fma_f64 v[146:147], v[138:139], s[6:7], v[146:147]
	v_fma_f64 v[194:195], v[140:141], s[6:7], v[192:193]
	v_fma_f64 v[192:193], v[140:141], s[6:7], -v[192:193]
	v_add_f64 v[150:151], v[150:151], v[198:199]
	v_add_f64 v[146:147], v[146:147], v[196:197]
	v_mul_f64 v[196:197], v[144:145], s[26:27]
	v_add_f64 v[192:193], v[192:193], v[202:203]
	v_mul_f64 v[202:203], v[142:143], s[26:27]
	v_add_f64 v[194:195], v[194:195], v[208:209]
	v_fma_f64 v[198:199], v[138:139], s[28:29], -v[196:197]
	v_fma_f64 v[196:197], v[138:139], s[28:29], v[196:197]
	v_fma_f64 v[208:209], v[140:141], s[28:29], v[202:203]
	v_fma_f64 v[202:203], v[140:141], s[28:29], -v[202:203]
	v_add_f64 v[198:199], v[198:199], v[210:211]
	v_add_f64 v[196:197], v[196:197], v[204:205]
	v_mul_f64 v[204:205], v[144:145], s[50:51]
	v_add_f64 v[202:203], v[202:203], v[212:213]
	v_mul_f64 v[212:213], v[142:143], s[50:51]
	v_add_f64 v[208:209], v[208:209], v[214:215]
	;; [unrolled: 10-line block ×4, first 2 shown]
	v_fma_f64 v[226:227], v[138:139], s[16:17], -v[224:225]
	v_fma_f64 v[224:225], v[138:139], s[16:17], v[224:225]
	v_fma_f64 v[233:234], v[140:141], s[16:17], v[228:229]
	v_fma_f64 v[228:229], v[140:141], s[16:17], -v[228:229]
	v_add_f64 v[226:227], v[226:227], v[237:238]
	v_add_f64 v[224:225], v[224:225], v[235:236]
	v_mul_f64 v[235:236], v[144:145], s[22:23]
	v_add_f64 v[228:229], v[228:229], v[239:240]
	v_add_f64 v[233:234], v[233:234], v[241:242]
	v_fma_f64 v[237:238], v[138:139], s[24:25], -v[235:236]
	v_fma_f64 v[235:236], v[138:139], s[24:25], v[235:236]
	v_add_f64 v[188:189], v[237:238], v[188:189]
	v_mul_f64 v[237:238], v[142:143], s[22:23]
	v_add_f64 v[2:3], v[235:236], v[2:3]
	v_fma_f64 v[235:236], v[140:141], s[24:25], -v[237:238]
	v_fma_f64 v[239:240], v[140:141], s[24:25], v[237:238]
	v_add_f64 v[206:207], v[235:236], v[206:207]
	v_mul_f64 v[235:236], v[144:145], s[2:3]
	v_mul_f64 v[144:145], v[144:145], s[30:31]
	v_add_f64 v[0:1], v[239:240], v[0:1]
	v_fma_f64 v[237:238], v[138:139], s[4:5], -v[235:236]
	v_fma_f64 v[235:236], v[138:139], s[4:5], v[235:236]
	v_add_f64 v[4:5], v[237:238], v[4:5]
	v_mul_f64 v[237:238], v[142:143], s[2:3]
	v_add_f64 v[10:11], v[235:236], v[10:11]
	v_mul_f64 v[142:143], v[142:143], s[30:31]
	v_fma_f64 v[235:236], v[140:141], s[4:5], -v[237:238]
	v_fma_f64 v[239:240], v[140:141], s[4:5], v[237:238]
	v_fma_f64 v[237:238], v[140:141], s[34:35], v[142:143]
	v_add_f64 v[6:7], v[235:236], v[6:7]
	v_fma_f64 v[235:236], v[138:139], s[34:35], -v[144:145]
	v_fma_f64 v[138:139], v[138:139], s[34:35], v[144:145]
	v_add_f64 v[144:145], v[182:183], -v[148:149]
	v_add_f64 v[12:13], v[237:238], v[12:13]
	v_add_f64 v[8:9], v[239:240], v[8:9]
	;; [unrolled: 1-line block ×4, first 2 shown]
	v_fma_f64 v[138:139], v[140:141], s[34:35], -v[142:143]
	v_add_f64 v[140:141], v[182:183], v[148:149]
	v_mul_f64 v[148:149], v[144:145], s[2:3]
	v_add_f64 v[142:143], v[184:185], -v[200:201]
	v_add_f64 v[136:137], v[138:139], v[136:137]
	v_add_f64 v[138:139], v[184:185], v[200:201]
	v_fma_f64 v[182:183], v[138:139], s[4:5], -v[148:149]
	v_fma_f64 v[148:149], v[138:139], s[4:5], v[148:149]
	v_add_f64 v[150:151], v[182:183], v[150:151]
	v_mul_f64 v[182:183], v[142:143], s[2:3]
	v_add_f64 v[146:147], v[148:149], v[146:147]
	v_fma_f64 v[184:185], v[140:141], s[4:5], v[182:183]
	v_fma_f64 v[148:149], v[140:141], s[4:5], -v[182:183]
	v_mul_f64 v[182:183], v[144:145], s[36:37]
	v_add_f64 v[184:185], v[184:185], v[194:195]
	v_add_f64 v[148:149], v[148:149], v[192:193]
	v_fma_f64 v[192:193], v[138:139], s[38:39], -v[182:183]
	v_fma_f64 v[182:183], v[138:139], s[38:39], v[182:183]
	v_mul_f64 v[194:195], v[142:143], s[36:37]
	v_add_f64 v[192:193], v[192:193], v[198:199]
	v_add_f64 v[182:183], v[182:183], v[196:197]
	v_mul_f64 v[196:197], v[144:145], s[40:41]
	v_fma_f64 v[198:199], v[140:141], s[38:39], v[194:195]
	v_fma_f64 v[194:195], v[140:141], s[38:39], -v[194:195]
	v_fma_f64 v[200:201], v[138:139], s[20:21], -v[196:197]
	v_fma_f64 v[196:197], v[138:139], s[20:21], v[196:197]
	v_add_f64 v[194:195], v[194:195], v[202:203]
	v_mul_f64 v[202:203], v[142:143], s[40:41]
	v_add_f64 v[198:199], v[198:199], v[208:209]
	v_add_f64 v[200:201], v[200:201], v[210:211]
	v_add_f64 v[196:197], v[196:197], v[204:205]
	v_mul_f64 v[204:205], v[144:145], s[46:47]
	v_fma_f64 v[208:209], v[140:141], s[20:21], v[202:203]
	v_fma_f64 v[202:203], v[140:141], s[20:21], -v[202:203]
	v_fma_f64 v[210:211], v[138:139], s[24:25], -v[204:205]
	v_fma_f64 v[204:205], v[138:139], s[24:25], v[204:205]
	v_add_f64 v[202:203], v[202:203], v[212:213]
	v_mul_f64 v[212:213], v[142:143], s[46:47]
	v_add_f64 v[208:209], v[208:209], v[214:215]
	;; [unrolled: 10-line block ×3, first 2 shown]
	v_add_f64 v[218:219], v[218:219], v[226:227]
	v_add_f64 v[216:217], v[216:217], v[224:225]
	v_mul_f64 v[224:225], v[144:145], s[30:31]
	v_fma_f64 v[222:223], v[140:141], s[6:7], v[220:221]
	v_fma_f64 v[220:221], v[140:141], s[6:7], -v[220:221]
	v_fma_f64 v[226:227], v[138:139], s[34:35], -v[224:225]
	v_fma_f64 v[224:225], v[138:139], s[34:35], v[224:225]
	v_add_f64 v[220:221], v[220:221], v[228:229]
	v_add_f64 v[222:223], v[222:223], v[233:234]
	;; [unrolled: 1-line block ×3, first 2 shown]
	v_mul_f64 v[226:227], v[142:143], s[30:31]
	v_add_f64 v[2:3], v[224:225], v[2:3]
	v_fma_f64 v[224:225], v[140:141], s[34:35], -v[226:227]
	v_fma_f64 v[228:229], v[140:141], s[34:35], v[226:227]
	v_add_f64 v[206:207], v[224:225], v[206:207]
	v_mul_f64 v[224:225], v[144:145], s[52:53]
	v_mul_f64 v[144:145], v[144:145], s[48:49]
	v_add_f64 v[0:1], v[228:229], v[0:1]
	v_fma_f64 v[226:227], v[138:139], s[28:29], -v[224:225]
	v_fma_f64 v[224:225], v[138:139], s[28:29], v[224:225]
	v_add_f64 v[4:5], v[226:227], v[4:5]
	v_mul_f64 v[226:227], v[142:143], s[52:53]
	v_add_f64 v[10:11], v[224:225], v[10:11]
	v_mul_f64 v[142:143], v[142:143], s[48:49]
	v_fma_f64 v[224:225], v[140:141], s[28:29], -v[226:227]
	v_fma_f64 v[228:229], v[140:141], s[28:29], v[226:227]
	v_fma_f64 v[226:227], v[140:141], s[16:17], v[142:143]
	v_add_f64 v[6:7], v[224:225], v[6:7]
	v_fma_f64 v[224:225], v[138:139], s[16:17], -v[144:145]
	v_fma_f64 v[138:139], v[138:139], s[16:17], v[144:145]
	v_add_f64 v[144:145], v[178:179], -v[186:187]
	v_add_f64 v[12:13], v[226:227], v[12:13]
	v_add_f64 v[8:9], v[228:229], v[8:9]
	;; [unrolled: 1-line block ×4, first 2 shown]
	v_fma_f64 v[138:139], v[140:141], s[16:17], -v[142:143]
	v_add_f64 v[140:141], v[178:179], v[186:187]
	v_mul_f64 v[178:179], v[144:145], s[18:19]
	v_add_f64 v[142:143], v[180:181], -v[190:191]
	v_add_f64 v[136:137], v[138:139], v[136:137]
	v_add_f64 v[138:139], v[180:181], v[190:191]
	v_fma_f64 v[180:181], v[138:139], s[20:21], -v[178:179]
	v_fma_f64 v[178:179], v[138:139], s[20:21], v[178:179]
	v_add_f64 v[150:151], v[180:181], v[150:151]
	v_mul_f64 v[180:181], v[142:143], s[18:19]
	v_add_f64 v[146:147], v[178:179], v[146:147]
	v_fma_f64 v[178:179], v[140:141], s[20:21], -v[180:181]
	v_fma_f64 v[186:187], v[140:141], s[20:21], v[180:181]
	v_add_f64 v[148:149], v[178:179], v[148:149]
	v_mul_f64 v[178:179], v[144:145], s[44:45]
	v_add_f64 v[184:185], v[186:187], v[184:185]
	v_mul_f64 v[186:187], v[142:143], s[44:45]
	v_fma_f64 v[180:181], v[138:139], s[34:35], -v[178:179]
	v_fma_f64 v[178:179], v[138:139], s[34:35], v[178:179]
	v_fma_f64 v[190:191], v[140:141], s[34:35], v[186:187]
	v_add_f64 v[180:181], v[180:181], v[192:193]
	v_add_f64 v[178:179], v[178:179], v[182:183]
	v_fma_f64 v[182:183], v[140:141], s[34:35], -v[186:187]
	v_mul_f64 v[186:187], v[144:145], s[48:49]
	v_add_f64 v[190:191], v[190:191], v[198:199]
	v_add_f64 v[182:183], v[182:183], v[194:195]
	v_fma_f64 v[192:193], v[138:139], s[16:17], -v[186:187]
	v_fma_f64 v[186:187], v[138:139], s[16:17], v[186:187]
	v_mul_f64 v[194:195], v[142:143], s[48:49]
	v_add_f64 v[192:193], v[192:193], v[200:201]
	v_add_f64 v[186:187], v[186:187], v[196:197]
	v_mul_f64 v[196:197], v[144:145], s[8:9]
	v_fma_f64 v[198:199], v[140:141], s[16:17], v[194:195]
	v_fma_f64 v[194:195], v[140:141], s[16:17], -v[194:195]
	v_fma_f64 v[200:201], v[138:139], s[6:7], -v[196:197]
	v_fma_f64 v[196:197], v[138:139], s[6:7], v[196:197]
	v_add_f64 v[194:195], v[194:195], v[202:203]
	v_mul_f64 v[202:203], v[142:143], s[8:9]
	v_add_f64 v[198:199], v[198:199], v[208:209]
	v_add_f64 v[200:201], v[200:201], v[210:211]
	;; [unrolled: 1-line block ×3, first 2 shown]
	v_mul_f64 v[204:205], v[144:145], s[36:37]
	v_fma_f64 v[208:209], v[140:141], s[6:7], v[202:203]
	v_fma_f64 v[202:203], v[140:141], s[6:7], -v[202:203]
	v_fma_f64 v[210:211], v[138:139], s[38:39], -v[204:205]
	v_fma_f64 v[204:205], v[138:139], s[38:39], v[204:205]
	v_add_f64 v[202:203], v[202:203], v[212:213]
	v_mul_f64 v[212:213], v[142:143], s[36:37]
	v_add_f64 v[208:209], v[208:209], v[214:215]
	v_add_f64 v[210:211], v[210:211], v[218:219]
	;; [unrolled: 1-line block ×3, first 2 shown]
	v_mul_f64 v[216:217], v[144:145], s[54:55]
	v_fma_f64 v[214:215], v[140:141], s[38:39], v[212:213]
	v_fma_f64 v[212:213], v[140:141], s[38:39], -v[212:213]
	v_fma_f64 v[218:219], v[138:139], s[4:5], -v[216:217]
	v_fma_f64 v[216:217], v[138:139], s[4:5], v[216:217]
	v_add_f64 v[212:213], v[212:213], v[220:221]
	v_add_f64 v[214:215], v[214:215], v[222:223]
	;; [unrolled: 1-line block ×3, first 2 shown]
	v_mul_f64 v[218:219], v[142:143], s[54:55]
	v_add_f64 v[2:3], v[216:217], v[2:3]
	v_fma_f64 v[216:217], v[140:141], s[4:5], -v[218:219]
	v_fma_f64 v[220:221], v[140:141], s[4:5], v[218:219]
	v_add_f64 v[206:207], v[216:217], v[206:207]
	v_mul_f64 v[216:217], v[144:145], s[22:23]
	v_mul_f64 v[144:145], v[144:145], s[26:27]
	v_add_f64 v[0:1], v[220:221], v[0:1]
	v_fma_f64 v[218:219], v[138:139], s[24:25], -v[216:217]
	v_fma_f64 v[216:217], v[138:139], s[24:25], v[216:217]
	v_add_f64 v[4:5], v[218:219], v[4:5]
	v_mul_f64 v[218:219], v[142:143], s[22:23]
	v_add_f64 v[10:11], v[216:217], v[10:11]
	v_mul_f64 v[142:143], v[142:143], s[26:27]
	v_fma_f64 v[216:217], v[140:141], s[24:25], -v[218:219]
	v_fma_f64 v[220:221], v[140:141], s[24:25], v[218:219]
	v_fma_f64 v[218:219], v[140:141], s[28:29], v[142:143]
	v_add_f64 v[6:7], v[216:217], v[6:7]
	v_fma_f64 v[216:217], v[138:139], s[28:29], -v[144:145]
	v_fma_f64 v[138:139], v[138:139], s[28:29], v[144:145]
	v_add_f64 v[144:145], v[170:171], -v[174:175]
	v_add_f64 v[12:13], v[218:219], v[12:13]
	v_add_f64 v[8:9], v[220:221], v[8:9]
	;; [unrolled: 1-line block ×4, first 2 shown]
	v_fma_f64 v[138:139], v[140:141], s[28:29], -v[142:143]
	v_add_f64 v[140:141], v[170:171], v[174:175]
	v_mul_f64 v[170:171], v[144:145], s[26:27]
	v_add_f64 v[142:143], v[172:173], -v[176:177]
	v_add_f64 v[136:137], v[138:139], v[136:137]
	v_add_f64 v[138:139], v[172:173], v[176:177]
	v_mul_f64 v[176:177], v[142:143], s[40:41]
	v_fma_f64 v[172:173], v[138:139], s[28:29], -v[170:171]
	v_fma_f64 v[170:171], v[138:139], s[28:29], v[170:171]
	v_add_f64 v[150:151], v[172:173], v[150:151]
	v_mul_f64 v[172:173], v[142:143], s[26:27]
	v_add_f64 v[146:147], v[170:171], v[146:147]
	v_fma_f64 v[170:171], v[140:141], s[28:29], -v[172:173]
	v_fma_f64 v[174:175], v[140:141], s[28:29], v[172:173]
	v_add_f64 v[148:149], v[170:171], v[148:149]
	v_mul_f64 v[170:171], v[144:145], s[40:41]
	v_add_f64 v[174:175], v[174:175], v[184:185]
	v_mul_f64 v[184:185], v[142:143], s[22:23]
	v_fma_f64 v[172:173], v[138:139], s[20:21], -v[170:171]
	v_fma_f64 v[170:171], v[138:139], s[20:21], v[170:171]
	v_add_f64 v[172:173], v[172:173], v[180:181]
	v_fma_f64 v[180:181], v[140:141], s[20:21], v[176:177]
	v_add_f64 v[170:171], v[170:171], v[178:179]
	v_fma_f64 v[176:177], v[140:141], s[20:21], -v[176:177]
	v_mul_f64 v[178:179], v[144:145], s[22:23]
	v_add_f64 v[180:181], v[180:181], v[190:191]
	v_fma_f64 v[190:191], v[140:141], s[24:25], v[184:185]
	v_add_f64 v[176:177], v[176:177], v[182:183]
	v_fma_f64 v[182:183], v[138:139], s[24:25], -v[178:179]
	v_fma_f64 v[178:179], v[138:139], s[24:25], v[178:179]
	v_fma_f64 v[184:185], v[140:141], s[24:25], -v[184:185]
	v_add_f64 v[190:191], v[190:191], v[198:199]
	v_add_f64 v[182:183], v[182:183], v[192:193]
	;; [unrolled: 1-line block ×3, first 2 shown]
	v_mul_f64 v[186:187], v[144:145], s[30:31]
	v_add_f64 v[184:185], v[184:185], v[194:195]
	v_mul_f64 v[194:195], v[142:143], s[30:31]
	v_fma_f64 v[192:193], v[138:139], s[34:35], -v[186:187]
	v_fma_f64 v[186:187], v[138:139], s[34:35], v[186:187]
	v_fma_f64 v[198:199], v[140:141], s[34:35], v[194:195]
	v_fma_f64 v[194:195], v[140:141], s[34:35], -v[194:195]
	v_add_f64 v[192:193], v[192:193], v[200:201]
	v_add_f64 v[186:187], v[186:187], v[196:197]
	v_mul_f64 v[196:197], v[144:145], s[54:55]
	v_add_f64 v[194:195], v[194:195], v[202:203]
	v_mul_f64 v[202:203], v[142:143], s[54:55]
	v_add_f64 v[198:199], v[198:199], v[208:209]
	v_fma_f64 v[200:201], v[138:139], s[4:5], -v[196:197]
	v_fma_f64 v[196:197], v[138:139], s[4:5], v[196:197]
	v_fma_f64 v[208:209], v[140:141], s[4:5], v[202:203]
	v_fma_f64 v[202:203], v[140:141], s[4:5], -v[202:203]
	v_add_f64 v[200:201], v[200:201], v[210:211]
	v_add_f64 v[196:197], v[196:197], v[204:205]
	v_mul_f64 v[204:205], v[144:145], s[14:15]
	v_add_f64 v[202:203], v[202:203], v[212:213]
	v_add_f64 v[208:209], v[208:209], v[214:215]
	v_fma_f64 v[210:211], v[138:139], s[16:17], -v[204:205]
	v_fma_f64 v[204:205], v[138:139], s[16:17], v[204:205]
	v_add_f64 v[188:189], v[210:211], v[188:189]
	v_mul_f64 v[210:211], v[142:143], s[14:15]
	v_add_f64 v[2:3], v[204:205], v[2:3]
	v_fma_f64 v[204:205], v[140:141], s[16:17], -v[210:211]
	v_fma_f64 v[212:213], v[140:141], s[16:17], v[210:211]
	v_add_f64 v[204:205], v[204:205], v[206:207]
	v_mul_f64 v[206:207], v[144:145], s[36:37]
	v_mul_f64 v[144:145], v[144:145], s[42:43]
	v_add_f64 v[0:1], v[212:213], v[0:1]
	v_fma_f64 v[210:211], v[138:139], s[38:39], -v[206:207]
	v_fma_f64 v[206:207], v[138:139], s[38:39], v[206:207]
	v_add_f64 v[4:5], v[210:211], v[4:5]
	v_mul_f64 v[210:211], v[142:143], s[36:37]
	v_add_f64 v[10:11], v[206:207], v[10:11]
	v_mul_f64 v[142:143], v[142:143], s[42:43]
	v_fma_f64 v[206:207], v[140:141], s[38:39], -v[210:211]
	v_fma_f64 v[212:213], v[140:141], s[38:39], v[210:211]
	v_fma_f64 v[210:211], v[140:141], s[6:7], v[142:143]
	v_add_f64 v[6:7], v[206:207], v[6:7]
	v_fma_f64 v[206:207], v[138:139], s[6:7], -v[144:145]
	v_fma_f64 v[138:139], v[138:139], s[6:7], v[144:145]
	v_add_f64 v[144:145], v[162:163], -v[166:167]
	v_add_f64 v[12:13], v[210:211], v[12:13]
	v_add_f64 v[210:211], v[154:155], -v[158:159]
	v_add_f64 v[8:9], v[212:213], v[8:9]
	v_add_f64 v[206:207], v[206:207], v[216:217]
	;; [unrolled: 1-line block ×3, first 2 shown]
	v_fma_f64 v[138:139], v[140:141], s[6:7], -v[142:143]
	v_add_f64 v[140:141], v[162:163], v[166:167]
	v_mul_f64 v[162:163], v[144:145], s[30:31]
	v_add_f64 v[142:143], v[164:165], -v[168:169]
	v_add_f64 v[136:137], v[138:139], v[136:137]
	v_add_f64 v[138:139], v[164:165], v[168:169]
	v_mul_f64 v[168:169], v[142:143], s[42:43]
	v_fma_f64 v[164:165], v[138:139], s[34:35], -v[162:163]
	v_fma_f64 v[162:163], v[138:139], s[34:35], v[162:163]
	v_add_f64 v[150:151], v[164:165], v[150:151]
	v_mul_f64 v[164:165], v[142:143], s[30:31]
	v_add_f64 v[146:147], v[162:163], v[146:147]
	v_fma_f64 v[162:163], v[140:141], s[34:35], -v[164:165]
	v_fma_f64 v[166:167], v[140:141], s[34:35], v[164:165]
	v_add_f64 v[148:149], v[162:163], v[148:149]
	v_mul_f64 v[162:163], v[144:145], s[42:43]
	v_add_f64 v[166:167], v[166:167], v[174:175]
	v_fma_f64 v[164:165], v[138:139], s[6:7], -v[162:163]
	v_fma_f64 v[162:163], v[138:139], s[6:7], v[162:163]
	v_add_f64 v[164:165], v[164:165], v[172:173]
	v_add_f64 v[162:163], v[162:163], v[170:171]
	v_mul_f64 v[170:171], v[144:145], s[2:3]
	v_fma_f64 v[172:173], v[140:141], s[6:7], v[168:169]
	v_fma_f64 v[168:169], v[140:141], s[6:7], -v[168:169]
	v_fma_f64 v[174:175], v[138:139], s[4:5], -v[170:171]
	v_fma_f64 v[170:171], v[138:139], s[4:5], v[170:171]
	v_add_f64 v[168:169], v[168:169], v[176:177]
	v_mul_f64 v[176:177], v[142:143], s[2:3]
	v_add_f64 v[172:173], v[172:173], v[180:181]
	v_add_f64 v[174:175], v[174:175], v[182:183]
	v_add_f64 v[170:171], v[170:171], v[178:179]
	v_mul_f64 v[178:179], v[144:145], s[52:53]
	v_fma_f64 v[180:181], v[140:141], s[4:5], v[176:177]
	v_fma_f64 v[176:177], v[140:141], s[4:5], -v[176:177]
	v_fma_f64 v[182:183], v[138:139], s[28:29], -v[178:179]
	v_fma_f64 v[178:179], v[138:139], s[28:29], v[178:179]
	v_add_f64 v[176:177], v[176:177], v[184:185]
	v_mul_f64 v[184:185], v[142:143], s[52:53]
	v_add_f64 v[180:181], v[180:181], v[190:191]
	;; [unrolled: 10-line block ×3, first 2 shown]
	v_add_f64 v[192:193], v[192:193], v[200:201]
	v_add_f64 v[186:187], v[186:187], v[196:197]
	v_mul_f64 v[196:197], v[144:145], s[36:37]
	v_fma_f64 v[198:199], v[140:141], s[24:25], v[194:195]
	v_fma_f64 v[194:195], v[140:141], s[24:25], -v[194:195]
	v_fma_f64 v[200:201], v[138:139], s[38:39], -v[196:197]
	v_fma_f64 v[196:197], v[138:139], s[38:39], v[196:197]
	v_add_f64 v[194:195], v[194:195], v[202:203]
	v_add_f64 v[198:199], v[198:199], v[208:209]
	v_add_f64 v[208:209], v[156:157], -v[160:161]
	v_add_f64 v[188:189], v[200:201], v[188:189]
	v_mul_f64 v[200:201], v[142:143], s[36:37]
	v_add_f64 v[2:3], v[196:197], v[2:3]
	v_fma_f64 v[202:203], v[140:141], s[38:39], v[200:201]
	v_fma_f64 v[196:197], v[140:141], s[38:39], -v[200:201]
	v_mul_f64 v[200:201], v[144:145], s[48:49]
	v_mul_f64 v[144:145], v[144:145], s[18:19]
	v_add_f64 v[0:1], v[202:203], v[0:1]
	v_add_f64 v[196:197], v[196:197], v[204:205]
	v_fma_f64 v[202:203], v[138:139], s[16:17], -v[200:201]
	v_fma_f64 v[200:201], v[138:139], s[16:17], v[200:201]
	v_add_f64 v[4:5], v[202:203], v[4:5]
	v_mul_f64 v[202:203], v[142:143], s[48:49]
	v_add_f64 v[10:11], v[200:201], v[10:11]
	v_mul_f64 v[142:143], v[142:143], s[18:19]
	v_fma_f64 v[200:201], v[140:141], s[16:17], -v[202:203]
	v_fma_f64 v[204:205], v[140:141], s[16:17], v[202:203]
	v_fma_f64 v[202:203], v[140:141], s[20:21], v[142:143]
	v_add_f64 v[6:7], v[200:201], v[6:7]
	v_fma_f64 v[200:201], v[138:139], s[20:21], -v[144:145]
	v_fma_f64 v[138:139], v[138:139], s[20:21], v[144:145]
	v_add_f64 v[12:13], v[202:203], v[12:13]
	v_add_f64 v[202:203], v[156:157], v[160:161]
	;; [unrolled: 1-line block ×3, first 2 shown]
	v_mul_f64 v[160:161], v[208:209], s[30:31]
	v_add_f64 v[200:201], v[200:201], v[206:207]
	v_add_f64 v[14:15], v[138:139], v[14:15]
	v_fma_f64 v[138:139], v[140:141], s[20:21], -v[142:143]
	v_mul_f64 v[140:141], v[210:211], s[36:37]
	v_add_f64 v[206:207], v[154:155], v[158:159]
	v_mul_f64 v[142:143], v[208:209], s[36:37]
	v_mul_f64 v[158:159], v[210:211], s[30:31]
	v_add_f64 v[204:205], v[138:139], v[136:137]
	v_fma_f64 v[136:137], v[202:203], s[38:39], -v[140:141]
	v_fma_f64 v[140:141], v[202:203], s[38:39], v[140:141]
	v_fma_f64 v[138:139], v[206:207], s[38:39], v[142:143]
	v_fma_f64 v[142:143], v[206:207], s[38:39], -v[142:143]
	v_fma_f64 v[156:157], v[206:207], s[34:35], v[160:161]
	v_fma_f64 v[160:161], v[206:207], s[34:35], -v[160:161]
	v_fma_f64 v[154:155], v[202:203], s[34:35], -v[158:159]
	v_fma_f64 v[158:159], v[202:203], s[34:35], v[158:159]
	v_add_f64 v[136:137], v[136:137], v[150:151]
	v_mul_f64 v[150:151], v[208:209], s[46:47]
	v_add_f64 v[140:141], v[140:141], v[146:147]
	v_add_f64 v[142:143], v[142:143], v[148:149]
	v_mul_f64 v[148:149], v[210:211], s[46:47]
	v_add_f64 v[138:139], v[138:139], v[166:167]
	v_mul_f64 v[166:167], v[210:211], s[48:49]
	v_add_f64 v[156:157], v[156:157], v[180:181]
	v_add_f64 v[160:161], v[160:161], v[176:177]
	v_fma_f64 v[146:147], v[206:207], s[24:25], v[150:151]
	v_fma_f64 v[150:151], v[206:207], s[24:25], -v[150:151]
	v_mul_f64 v[176:177], v[208:209], s[26:27]
	v_fma_f64 v[144:145], v[202:203], s[24:25], -v[148:149]
	v_fma_f64 v[148:149], v[202:203], s[24:25], v[148:149]
	v_add_f64 v[154:155], v[154:155], v[174:175]
	v_mul_f64 v[174:175], v[210:211], s[26:27]
	v_add_f64 v[158:159], v[158:159], v[170:171]
	v_add_f64 v[146:147], v[146:147], v[172:173]
	;; [unrolled: 1-line block ×3, first 2 shown]
	v_mul_f64 v[168:169], v[208:209], s[48:49]
	v_add_f64 v[144:145], v[144:145], v[164:165]
	v_add_f64 v[148:149], v[148:149], v[162:163]
	v_fma_f64 v[162:163], v[202:203], s[16:17], -v[166:167]
	v_fma_f64 v[166:167], v[202:203], s[16:17], v[166:167]
	v_fma_f64 v[172:173], v[206:207], s[28:29], v[176:177]
	v_fma_f64 v[176:177], v[206:207], s[28:29], -v[176:177]
	v_fma_f64 v[170:171], v[202:203], s[28:29], -v[174:175]
	v_fma_f64 v[164:165], v[206:207], s[16:17], v[168:169]
	v_fma_f64 v[168:169], v[206:207], s[16:17], -v[168:169]
	v_fma_f64 v[174:175], v[202:203], s[28:29], v[174:175]
	v_add_f64 v[162:163], v[162:163], v[182:183]
	v_mul_f64 v[182:183], v[210:211], s[42:43]
	v_add_f64 v[166:167], v[166:167], v[178:179]
	v_add_f64 v[176:177], v[176:177], v[194:195]
	;; [unrolled: 1-line block ×5, first 2 shown]
	v_mul_f64 v[184:185], v[208:209], s[42:43]
	v_add_f64 v[170:171], v[170:171], v[192:193]
	v_fma_f64 v[178:179], v[202:203], s[6:7], -v[182:183]
	v_add_f64 v[174:175], v[174:175], v[186:187]
	v_fma_f64 v[180:181], v[206:207], s[6:7], v[184:185]
	v_add_f64 v[178:179], v[178:179], v[188:189]
	v_add_f64 v[180:181], v[180:181], v[0:1]
	v_fma_f64 v[0:1], v[202:203], s[6:7], v[182:183]
	v_add_f64 v[182:183], v[0:1], v[2:3]
	v_fma_f64 v[0:1], v[206:207], s[6:7], -v[184:185]
	v_add_f64 v[184:185], v[0:1], v[196:197]
	v_mul_f64 v[0:1], v[210:211], s[18:19]
	v_fma_f64 v[2:3], v[202:203], s[20:21], -v[0:1]
	v_fma_f64 v[0:1], v[202:203], s[20:21], v[0:1]
	v_add_f64 v[190:191], v[2:3], v[4:5]
	v_mul_f64 v[2:3], v[208:209], s[18:19]
	v_add_f64 v[194:195], v[0:1], v[10:11]
	v_fma_f64 v[0:1], v[206:207], s[20:21], -v[2:3]
	v_fma_f64 v[4:5], v[206:207], s[20:21], v[2:3]
	v_add_f64 v[196:197], v[0:1], v[6:7]
	v_mul_f64 v[0:1], v[210:211], s[54:55]
	v_add_f64 v[192:193], v[4:5], v[8:9]
	;; [unrolled: 5-line block ×3, first 2 shown]
	v_fma_f64 v[4:5], v[206:207], s[4:5], v[2:3]
	v_fma_f64 v[0:1], v[206:207], s[4:5], -v[2:3]
	v_add_f64 v[200:201], v[4:5], v[12:13]
	v_add_f64 v[204:205], v[0:1], v[204:205]
	ds_write_b128 v230, v[132:135]
	ds_write_b128 v230, v[136:139] offset:272
	ds_write_b128 v230, v[144:147] offset:544
	;; [unrolled: 1-line block ×16, first 2 shown]
	s_waitcnt lgkmcnt(0)
	s_barrier
	global_load_dwordx4 v[138:141], v[152:153], off offset:528
	ds_read_b128 v[134:137], v230
	v_add_co_u32_e32 v132, vcc, s10, v255
	v_addc_co_u32_e32 v133, vcc, 0, v231, vcc
	s_movk_i32 s10, 0x2000
	s_waitcnt vmcnt(0) lgkmcnt(0)
	v_mul_f64 v[0:1], v[136:137], v[140:141]
	v_fma_f64 v[142:143], v[134:135], v[138:139], -v[0:1]
	v_mul_f64 v[0:1], v[134:135], v[140:141]
	v_fma_f64 v[144:145], v[136:137], v[138:139], v[0:1]
	global_load_dwordx4 v[138:141], v[132:133], off offset:272
	ds_read_b128 v[134:137], v230 offset:272
	ds_write_b128 v230, v[142:145]
	s_waitcnt vmcnt(0) lgkmcnt(1)
	v_mul_f64 v[0:1], v[136:137], v[140:141]
	v_fma_f64 v[142:143], v[134:135], v[138:139], -v[0:1]
	v_mul_f64 v[0:1], v[134:135], v[140:141]
	v_fma_f64 v[144:145], v[136:137], v[138:139], v[0:1]
	global_load_dwordx4 v[138:141], v[132:133], off offset:544
	ds_read_b128 v[134:137], v230 offset:544
	ds_write_b128 v230, v[142:145] offset:272
	s_waitcnt vmcnt(0) lgkmcnt(1)
	v_mul_f64 v[0:1], v[136:137], v[140:141]
	v_fma_f64 v[142:143], v[134:135], v[138:139], -v[0:1]
	v_mul_f64 v[0:1], v[134:135], v[140:141]
	v_fma_f64 v[144:145], v[136:137], v[138:139], v[0:1]
	global_load_dwordx4 v[138:141], v[132:133], off offset:816
	ds_read_b128 v[134:137], v230 offset:816
	ds_write_b128 v230, v[142:145] offset:544
	;; [unrolled: 8-line block ×14, first 2 shown]
	s_waitcnt vmcnt(0) lgkmcnt(1)
	v_mul_f64 v[0:1], v[136:137], v[140:141]
	v_fma_f64 v[132:133], v[134:135], v[138:139], -v[0:1]
	v_mul_f64 v[0:1], v[134:135], v[140:141]
	v_fma_f64 v[134:135], v[136:137], v[138:139], v[0:1]
	v_add_co_u32_e32 v0, vcc, s10, v255
	v_addc_co_u32_e32 v1, vcc, 0, v231, vcc
	global_load_dwordx4 v[136:139], v[0:1], off offset:784
	ds_write_b128 v230, v[132:135] offset:4080
	ds_read_b128 v[132:135], v230 offset:4352
	s_waitcnt vmcnt(0) lgkmcnt(0)
	v_mul_f64 v[0:1], v[134:135], v[138:139]
	v_fma_f64 v[140:141], v[132:133], v[136:137], -v[0:1]
	v_mul_f64 v[0:1], v[132:133], v[138:139]
	v_fma_f64 v[142:143], v[134:135], v[136:137], v[0:1]
	ds_write_b128 v230, v[140:143] offset:4352
	s_waitcnt lgkmcnt(0)
	s_barrier
	ds_read_b128 v[190:193], v230
	ds_read_b128 v[194:197], v230 offset:272
	ds_read_b128 v[184:187], v230 offset:544
	;; [unrolled: 1-line block ×16, first 2 shown]
	s_waitcnt lgkmcnt(14)
	v_add_f64 v[0:1], v[190:191], v[194:195]
	v_add_f64 v[2:3], v[192:193], v[196:197]
	s_waitcnt lgkmcnt(0)
	s_barrier
	v_add_f64 v[6:7], v[196:197], -v[204:205]
	v_add_f64 v[4:5], v[194:195], -v[202:203]
	v_add_f64 v[0:1], v[0:1], v[184:185]
	v_add_f64 v[2:3], v[2:3], v[186:187]
	v_mul_f64 v[8:9], v[6:7], s[22:23]
	v_mul_f64 v[188:189], v[6:7], s[14:15]
	;; [unrolled: 1-line block ×4, first 2 shown]
	v_add_f64 v[0:1], v[0:1], v[176:177]
	v_add_f64 v[2:3], v[2:3], v[178:179]
	v_mul_f64 v[228:229], v[6:7], s[26:27]
	v_mul_f64 v[239:240], v[6:7], s[30:31]
	v_add_f64 v[0:1], v[0:1], v[168:169]
	v_add_f64 v[2:3], v[2:3], v[170:171]
	;; [unrolled: 1-line block ×28, first 2 shown]
	v_mul_f64 v[204:205], v[6:7], s[8:9]
	v_mul_f64 v[6:7], v[6:7], s[36:37]
	v_fma_f64 v[10:11], v[0:1], s[24:25], v[8:9]
	v_mul_f64 v[12:13], v[2:3], s[24:25]
	v_fma_f64 v[8:9], v[0:1], s[24:25], -v[8:9]
	v_fma_f64 v[194:195], v[0:1], s[16:17], v[188:189]
	v_mul_f64 v[196:197], v[2:3], s[16:17]
	v_fma_f64 v[188:189], v[0:1], s[16:17], -v[188:189]
	;; [unrolled: 3-line block ×8, first 2 shown]
	v_add_f64 v[6:7], v[186:187], v[200:201]
	v_add_f64 v[186:187], v[186:187], -v[200:201]
	v_add_f64 v[10:11], v[190:191], v[10:11]
	v_fma_f64 v[14:15], v[4:5], s[46:47], v[12:13]
	v_add_f64 v[8:9], v[190:191], v[8:9]
	v_fma_f64 v[12:13], v[4:5], s[22:23], v[12:13]
	;; [unrolled: 2-line block ×16, first 2 shown]
	v_add_f64 v[4:5], v[184:185], v[198:199]
	v_mul_f64 v[190:191], v[186:187], s[14:15]
	v_add_f64 v[14:15], v[192:193], v[14:15]
	v_add_f64 v[12:13], v[192:193], v[12:13]
	;; [unrolled: 1-line block ×16, first 2 shown]
	v_fma_f64 v[192:193], v[4:5], s[16:17], v[190:191]
	v_add_f64 v[184:185], v[184:185], -v[198:199]
	v_fma_f64 v[190:191], v[4:5], s[16:17], -v[190:191]
	v_mul_f64 v[200:201], v[6:7], s[28:29]
	v_add_f64 v[10:11], v[192:193], v[10:11]
	v_mul_f64 v[192:193], v[6:7], s[16:17]
	v_add_f64 v[8:9], v[190:191], v[8:9]
	v_fma_f64 v[190:191], v[184:185], s[14:15], v[192:193]
	v_fma_f64 v[198:199], v[184:185], s[48:49], v[192:193]
	v_add_f64 v[12:13], v[190:191], v[12:13]
	v_mul_f64 v[190:191], v[186:187], s[2:3]
	v_add_f64 v[14:15], v[198:199], v[14:15]
	v_fma_f64 v[192:193], v[4:5], s[4:5], v[190:191]
	v_fma_f64 v[190:191], v[4:5], s[4:5], -v[190:191]
	v_add_f64 v[192:193], v[192:193], v[194:195]
	v_mul_f64 v[194:195], v[6:7], s[4:5]
	v_add_f64 v[188:189], v[190:191], v[188:189]
	v_fma_f64 v[198:199], v[184:185], s[54:55], v[194:195]
	v_fma_f64 v[190:191], v[184:185], s[2:3], v[194:195]
	v_mul_f64 v[194:195], v[186:187], s[26:27]
	v_add_f64 v[198:199], v[198:199], v[202:203]
	v_add_f64 v[190:191], v[190:191], v[196:197]
	v_fma_f64 v[196:197], v[4:5], s[28:29], v[194:195]
	v_fma_f64 v[194:195], v[4:5], s[28:29], -v[194:195]
	v_fma_f64 v[202:203], v[184:185], s[52:53], v[200:201]
	v_fma_f64 v[200:201], v[184:185], s[26:27], v[200:201]
	v_add_f64 v[196:197], v[196:197], v[206:207]
	v_add_f64 v[194:195], v[194:195], v[204:205]
	v_mul_f64 v[204:205], v[186:187], s[36:37]
	v_add_f64 v[200:201], v[200:201], v[208:209]
	v_mul_f64 v[208:209], v[6:7], s[38:39]
	v_add_f64 v[202:203], v[202:203], v[210:211]
	v_fma_f64 v[206:207], v[4:5], s[38:39], v[204:205]
	v_fma_f64 v[204:205], v[4:5], s[38:39], -v[204:205]
	v_fma_f64 v[210:211], v[184:185], s[50:51], v[208:209]
	v_fma_f64 v[208:209], v[184:185], s[36:37], v[208:209]
	v_add_f64 v[206:207], v[206:207], v[214:215]
	v_add_f64 v[204:205], v[204:205], v[212:213]
	v_mul_f64 v[212:213], v[186:187], s[44:45]
	v_add_f64 v[208:209], v[208:209], v[216:217]
	v_mul_f64 v[216:217], v[6:7], s[34:35]
	;; [unrolled: 10-line block ×3, first 2 shown]
	v_add_f64 v[218:219], v[218:219], v[226:227]
	v_fma_f64 v[222:223], v[4:5], s[20:21], v[220:221]
	v_fma_f64 v[220:221], v[4:5], s[20:21], -v[220:221]
	v_fma_f64 v[226:227], v[184:185], s[18:19], v[224:225]
	v_fma_f64 v[224:225], v[184:185], s[40:41], v[224:225]
	v_add_f64 v[222:223], v[222:223], v[233:234]
	v_add_f64 v[220:221], v[220:221], v[228:229]
	v_mul_f64 v[228:229], v[186:187], s[42:43]
	v_mul_f64 v[186:187], v[186:187], s[46:47]
	v_add_f64 v[224:225], v[224:225], v[235:236]
	v_mul_f64 v[235:236], v[6:7], s[6:7]
	v_mul_f64 v[6:7], v[6:7], s[24:25]
	v_add_f64 v[226:227], v[226:227], v[237:238]
	v_fma_f64 v[233:234], v[4:5], s[6:7], v[228:229]
	v_fma_f64 v[228:229], v[4:5], s[6:7], -v[228:229]
	v_fma_f64 v[237:238], v[184:185], s[8:9], v[235:236]
	v_fma_f64 v[235:236], v[184:185], s[42:43], v[235:236]
	v_add_f64 v[233:234], v[233:234], v[241:242]
	v_add_f64 v[228:229], v[228:229], v[239:240]
	v_fma_f64 v[239:240], v[4:5], s[24:25], v[186:187]
	v_fma_f64 v[4:5], v[4:5], s[24:25], -v[186:187]
	v_fma_f64 v[241:242], v[184:185], s[22:23], v[6:7]
	v_add_f64 v[235:236], v[235:236], v[243:244]
	v_add_f64 v[237:238], v[237:238], v[245:246]
	;; [unrolled: 1-line block ×4, first 2 shown]
	v_fma_f64 v[4:5], v[184:185], s[46:47], v[6:7]
	v_add_f64 v[6:7], v[178:179], v[182:183]
	v_add_f64 v[178:179], v[178:179], -v[182:183]
	v_add_f64 v[241:242], v[241:242], v[249:250]
	v_add_f64 v[2:3], v[4:5], v[2:3]
	v_add_f64 v[4:5], v[176:177], v[180:181]
	v_add_f64 v[176:177], v[176:177], -v[180:181]
	v_mul_f64 v[180:181], v[178:179], s[8:9]
	v_fma_f64 v[182:183], v[4:5], s[6:7], v[180:181]
	v_fma_f64 v[180:181], v[4:5], s[6:7], -v[180:181]
	v_add_f64 v[10:11], v[182:183], v[10:11]
	v_mul_f64 v[182:183], v[6:7], s[6:7]
	v_add_f64 v[8:9], v[180:181], v[8:9]
	v_fma_f64 v[180:181], v[176:177], s[8:9], v[182:183]
	v_fma_f64 v[184:185], v[176:177], s[42:43], v[182:183]
	v_add_f64 v[12:13], v[180:181], v[12:13]
	v_mul_f64 v[180:181], v[178:179], s[26:27]
	v_add_f64 v[14:15], v[184:185], v[14:15]
	v_mul_f64 v[184:185], v[6:7], s[28:29]
	v_fma_f64 v[182:183], v[4:5], s[28:29], v[180:181]
	v_fma_f64 v[180:181], v[4:5], s[28:29], -v[180:181]
	v_fma_f64 v[186:187], v[176:177], s[52:53], v[184:185]
	v_fma_f64 v[184:185], v[176:177], s[26:27], v[184:185]
	v_add_f64 v[182:183], v[182:183], v[192:193]
	v_add_f64 v[180:181], v[180:181], v[188:189]
	v_mul_f64 v[188:189], v[178:179], s[50:51]
	v_add_f64 v[184:185], v[184:185], v[190:191]
	v_mul_f64 v[192:193], v[6:7], s[38:39]
	v_add_f64 v[186:187], v[186:187], v[198:199]
	v_fma_f64 v[190:191], v[4:5], s[38:39], v[188:189]
	v_fma_f64 v[188:189], v[4:5], s[38:39], -v[188:189]
	v_add_f64 v[190:191], v[190:191], v[196:197]
	v_add_f64 v[188:189], v[188:189], v[194:195]
	v_mul_f64 v[194:195], v[178:179], s[40:41]
	v_fma_f64 v[196:197], v[176:177], s[36:37], v[192:193]
	v_fma_f64 v[192:193], v[176:177], s[50:51], v[192:193]
	v_fma_f64 v[198:199], v[4:5], s[20:21], v[194:195]
	v_fma_f64 v[194:195], v[4:5], s[20:21], -v[194:195]
	v_add_f64 v[192:193], v[192:193], v[200:201]
	v_mul_f64 v[200:201], v[6:7], s[20:21]
	v_add_f64 v[196:197], v[196:197], v[202:203]
	v_add_f64 v[198:199], v[198:199], v[206:207]
	v_add_f64 v[194:195], v[194:195], v[204:205]
	v_mul_f64 v[204:205], v[178:179], s[48:49]
	v_fma_f64 v[202:203], v[176:177], s[18:19], v[200:201]
	v_fma_f64 v[200:201], v[176:177], s[40:41], v[200:201]
	v_fma_f64 v[206:207], v[4:5], s[16:17], v[204:205]
	v_fma_f64 v[204:205], v[4:5], s[16:17], -v[204:205]
	v_add_f64 v[200:201], v[200:201], v[208:209]
	v_mul_f64 v[208:209], v[6:7], s[16:17]
	v_add_f64 v[202:203], v[202:203], v[210:211]
	;; [unrolled: 10-line block ×3, first 2 shown]
	v_add_f64 v[214:215], v[214:215], v[222:223]
	v_add_f64 v[212:213], v[212:213], v[220:221]
	v_mul_f64 v[220:221], v[178:179], s[2:3]
	v_fma_f64 v[218:219], v[176:177], s[46:47], v[216:217]
	v_fma_f64 v[216:217], v[176:177], s[22:23], v[216:217]
	v_mul_f64 v[178:179], v[178:179], s[30:31]
	v_fma_f64 v[222:223], v[4:5], s[4:5], v[220:221]
	v_fma_f64 v[220:221], v[4:5], s[4:5], -v[220:221]
	v_add_f64 v[216:217], v[216:217], v[224:225]
	v_mul_f64 v[224:225], v[6:7], s[4:5]
	v_mul_f64 v[6:7], v[6:7], s[34:35]
	v_add_f64 v[218:219], v[218:219], v[226:227]
	v_add_f64 v[222:223], v[222:223], v[233:234]
	;; [unrolled: 1-line block ×3, first 2 shown]
	v_fma_f64 v[228:229], v[4:5], s[34:35], v[178:179]
	v_fma_f64 v[4:5], v[4:5], s[34:35], -v[178:179]
	v_fma_f64 v[233:234], v[176:177], s[44:45], v[6:7]
	v_fma_f64 v[226:227], v[176:177], s[54:55], v[224:225]
	;; [unrolled: 1-line block ×3, first 2 shown]
	v_add_f64 v[228:229], v[228:229], v[239:240]
	v_add_f64 v[0:1], v[4:5], v[0:1]
	v_fma_f64 v[4:5], v[176:177], s[30:31], v[6:7]
	v_add_f64 v[6:7], v[170:171], v[174:175]
	v_add_f64 v[170:171], v[170:171], -v[174:175]
	v_add_f64 v[224:225], v[224:225], v[235:236]
	v_add_f64 v[233:234], v[233:234], v[241:242]
	;; [unrolled: 1-line block ×5, first 2 shown]
	v_add_f64 v[168:169], v[168:169], -v[172:173]
	v_mul_f64 v[172:173], v[170:171], s[2:3]
	v_fma_f64 v[174:175], v[4:5], s[4:5], v[172:173]
	v_fma_f64 v[172:173], v[4:5], s[4:5], -v[172:173]
	v_add_f64 v[10:11], v[174:175], v[10:11]
	v_mul_f64 v[174:175], v[6:7], s[4:5]
	v_add_f64 v[8:9], v[172:173], v[8:9]
	v_fma_f64 v[172:173], v[168:169], s[2:3], v[174:175]
	v_fma_f64 v[176:177], v[168:169], s[54:55], v[174:175]
	v_add_f64 v[12:13], v[172:173], v[12:13]
	v_mul_f64 v[172:173], v[170:171], s[36:37]
	v_add_f64 v[14:15], v[176:177], v[14:15]
	v_mul_f64 v[176:177], v[6:7], s[38:39]
	v_fma_f64 v[174:175], v[4:5], s[38:39], v[172:173]
	v_fma_f64 v[172:173], v[4:5], s[38:39], -v[172:173]
	v_fma_f64 v[178:179], v[168:169], s[50:51], v[176:177]
	v_fma_f64 v[176:177], v[168:169], s[36:37], v[176:177]
	v_add_f64 v[174:175], v[174:175], v[182:183]
	v_add_f64 v[172:173], v[172:173], v[180:181]
	v_mul_f64 v[180:181], v[170:171], s[40:41]
	v_add_f64 v[176:177], v[176:177], v[184:185]
	v_mul_f64 v[184:185], v[6:7], s[20:21]
	v_add_f64 v[178:179], v[178:179], v[186:187]
	v_fma_f64 v[182:183], v[4:5], s[20:21], v[180:181]
	v_fma_f64 v[180:181], v[4:5], s[20:21], -v[180:181]
	v_fma_f64 v[186:187], v[168:169], s[18:19], v[184:185]
	v_fma_f64 v[184:185], v[168:169], s[40:41], v[184:185]
	v_add_f64 v[182:183], v[182:183], v[190:191]
	v_add_f64 v[180:181], v[180:181], v[188:189]
	v_mul_f64 v[188:189], v[170:171], s[46:47]
	v_add_f64 v[184:185], v[184:185], v[192:193]
	v_mul_f64 v[192:193], v[6:7], s[24:25]
	v_add_f64 v[186:187], v[186:187], v[196:197]
	v_fma_f64 v[190:191], v[4:5], s[24:25], v[188:189]
	v_fma_f64 v[188:189], v[4:5], s[24:25], -v[188:189]
	v_fma_f64 v[196:197], v[168:169], s[22:23], v[192:193]
	v_fma_f64 v[192:193], v[168:169], s[46:47], v[192:193]
	v_add_f64 v[190:191], v[190:191], v[198:199]
	v_add_f64 v[188:189], v[188:189], v[194:195]
	v_mul_f64 v[194:195], v[170:171], s[8:9]
	v_add_f64 v[192:193], v[192:193], v[200:201]
	v_add_f64 v[196:197], v[196:197], v[202:203]
	v_fma_f64 v[198:199], v[4:5], s[6:7], v[194:195]
	v_fma_f64 v[194:195], v[4:5], s[6:7], -v[194:195]
	v_add_f64 v[235:236], v[198:199], v[206:207]
	v_mul_f64 v[198:199], v[6:7], s[6:7]
	v_add_f64 v[239:240], v[194:195], v[204:205]
	v_fma_f64 v[194:195], v[168:169], s[8:9], v[198:199]
	v_fma_f64 v[200:201], v[168:169], s[42:43], v[198:199]
	v_add_f64 v[241:242], v[194:195], v[208:209]
	v_mul_f64 v[194:195], v[170:171], s[30:31]
	v_add_f64 v[237:238], v[200:201], v[210:211]
	v_fma_f64 v[198:199], v[4:5], s[34:35], v[194:195]
	v_fma_f64 v[194:195], v[4:5], s[34:35], -v[194:195]
	v_add_f64 v[243:244], v[198:199], v[214:215]
	v_mul_f64 v[198:199], v[6:7], s[34:35]
	v_add_f64 v[247:248], v[194:195], v[212:213]
	v_fma_f64 v[194:195], v[168:169], s[30:31], v[198:199]
	v_fma_f64 v[200:201], v[168:169], s[44:45], v[198:199]
	v_add_f64 v[249:250], v[194:195], v[216:217]
	v_mul_f64 v[194:195], v[170:171], s[52:53]
	v_mul_f64 v[170:171], v[170:171], s[48:49]
	v_add_f64 v[245:246], v[200:201], v[218:219]
	v_fma_f64 v[198:199], v[4:5], s[28:29], v[194:195]
	v_fma_f64 v[194:195], v[4:5], s[28:29], -v[194:195]
	v_add_f64 v[251:252], v[198:199], v[222:223]
	v_mul_f64 v[198:199], v[6:7], s[28:29]
	v_add_f64 v[253:254], v[194:195], v[220:221]
	v_mul_f64 v[6:7], v[6:7], s[16:17]
	v_fma_f64 v[194:195], v[168:169], s[52:53], v[198:199]
	v_fma_f64 v[200:201], v[168:169], s[26:27], v[198:199]
	;; [unrolled: 1-line block ×3, first 2 shown]
	v_add_f64 v[224:225], v[194:195], v[224:225]
	v_fma_f64 v[194:195], v[4:5], s[16:17], v[170:171]
	v_fma_f64 v[4:5], v[4:5], s[16:17], -v[170:171]
	v_add_f64 v[18:19], v[18:19], v[233:234]
	v_add_f64 v[233:234], v[160:161], -v[164:165]
	v_add_f64 v[226:227], v[200:201], v[226:227]
	v_add_f64 v[16:17], v[194:195], v[228:229]
	;; [unrolled: 1-line block ×3, first 2 shown]
	v_fma_f64 v[4:5], v[168:169], s[48:49], v[6:7]
	v_add_f64 v[6:7], v[162:163], v[166:167]
	v_add_f64 v[166:167], v[162:163], -v[166:167]
	v_add_f64 v[2:3], v[4:5], v[2:3]
	v_add_f64 v[4:5], v[160:161], v[164:165]
	v_mul_f64 v[160:161], v[166:167], s[18:19]
	v_fma_f64 v[162:163], v[4:5], s[20:21], v[160:161]
	v_add_f64 v[228:229], v[162:163], v[10:11]
	v_mul_f64 v[10:11], v[6:7], s[20:21]
	v_fma_f64 v[162:163], v[233:234], s[40:41], v[10:11]
	v_add_f64 v[218:219], v[162:163], v[14:15]
	v_fma_f64 v[14:15], v[4:5], s[20:21], -v[160:161]
	v_add_f64 v[220:221], v[14:15], v[8:9]
	v_fma_f64 v[8:9], v[233:234], s[18:19], v[10:11]
	v_add_f64 v[222:223], v[8:9], v[12:13]
	v_mul_f64 v[8:9], v[166:167], s[44:45]
	v_fma_f64 v[10:11], v[4:5], s[34:35], v[8:9]
	v_fma_f64 v[8:9], v[4:5], s[34:35], -v[8:9]
	v_add_f64 v[216:217], v[10:11], v[174:175]
	v_mul_f64 v[10:11], v[6:7], s[34:35]
	v_add_f64 v[212:213], v[8:9], v[172:173]
	v_fma_f64 v[8:9], v[233:234], s[44:45], v[10:11]
	v_fma_f64 v[12:13], v[233:234], s[30:31], v[10:11]
	v_add_f64 v[214:215], v[8:9], v[176:177]
	v_mul_f64 v[8:9], v[166:167], s[48:49]
	v_add_f64 v[210:211], v[12:13], v[178:179]
	v_fma_f64 v[10:11], v[4:5], s[16:17], v[8:9]
	v_fma_f64 v[8:9], v[4:5], s[16:17], -v[8:9]
	v_add_f64 v[208:209], v[10:11], v[182:183]
	v_mul_f64 v[10:11], v[6:7], s[16:17]
	v_add_f64 v[204:205], v[8:9], v[180:181]
	v_fma_f64 v[8:9], v[233:234], s[48:49], v[10:11]
	v_fma_f64 v[12:13], v[233:234], s[14:15], v[10:11]
	v_add_f64 v[206:207], v[8:9], v[184:185]
	v_mul_f64 v[8:9], v[166:167], s[8:9]
	v_add_f64 v[202:203], v[12:13], v[186:187]
	v_fma_f64 v[10:11], v[4:5], s[6:7], v[8:9]
	v_fma_f64 v[8:9], v[4:5], s[6:7], -v[8:9]
	v_add_f64 v[200:201], v[10:11], v[190:191]
	v_mul_f64 v[10:11], v[6:7], s[6:7]
	v_fma_f64 v[12:13], v[233:234], s[42:43], v[10:11]
	v_add_f64 v[194:195], v[12:13], v[196:197]
	v_add_f64 v[196:197], v[8:9], v[188:189]
	v_fma_f64 v[8:9], v[233:234], s[8:9], v[10:11]
	v_add_f64 v[198:199], v[8:9], v[192:193]
	v_mul_f64 v[8:9], v[166:167], s[36:37]
	v_fma_f64 v[10:11], v[4:5], s[38:39], v[8:9]
	v_fma_f64 v[8:9], v[4:5], s[38:39], -v[8:9]
	v_add_f64 v[192:193], v[10:11], v[235:236]
	v_mul_f64 v[10:11], v[6:7], s[38:39]
	v_add_f64 v[186:187], v[8:9], v[239:240]
	v_fma_f64 v[8:9], v[233:234], s[36:37], v[10:11]
	v_fma_f64 v[12:13], v[233:234], s[50:51], v[10:11]
	v_add_f64 v[184:185], v[8:9], v[241:242]
	v_mul_f64 v[8:9], v[166:167], s[54:55]
	v_add_f64 v[190:191], v[12:13], v[237:238]
	v_fma_f64 v[10:11], v[4:5], s[4:5], v[8:9]
	v_fma_f64 v[8:9], v[4:5], s[4:5], -v[8:9]
	v_add_f64 v[182:183], v[10:11], v[243:244]
	v_mul_f64 v[10:11], v[6:7], s[4:5]
	v_add_f64 v[178:179], v[8:9], v[247:248]
	v_fma_f64 v[8:9], v[233:234], s[54:55], v[10:11]
	v_fma_f64 v[12:13], v[233:234], s[2:3], v[10:11]
	v_add_f64 v[180:181], v[8:9], v[249:250]
	v_mul_f64 v[8:9], v[166:167], s[22:23]
	v_add_f64 v[176:177], v[12:13], v[245:246]
	v_fma_f64 v[10:11], v[4:5], s[24:25], v[8:9]
	v_fma_f64 v[8:9], v[4:5], s[24:25], -v[8:9]
	v_add_f64 v[174:175], v[10:11], v[251:252]
	v_mul_f64 v[10:11], v[6:7], s[24:25]
	v_add_f64 v[162:163], v[8:9], v[253:254]
	v_mul_f64 v[6:7], v[6:7], s[28:29]
	v_fma_f64 v[12:13], v[233:234], s[46:47], v[10:11]
	v_fma_f64 v[8:9], v[233:234], s[22:23], v[10:11]
	v_add_f64 v[160:161], v[12:13], v[226:227]
	v_add_f64 v[226:227], v[154:155], v[158:159]
	v_add_f64 v[164:165], v[8:9], v[224:225]
	v_add_f64 v[224:225], v[152:153], v[156:157]
	v_add_f64 v[152:153], v[152:153], -v[156:157]
	v_add_f64 v[154:155], v[154:155], -v[158:159]
	v_mul_f64 v[8:9], v[166:167], s[26:27]
	v_mul_f64 v[156:157], v[226:227], s[24:25]
	;; [unrolled: 1-line block ×4, first 2 shown]
	v_fma_f64 v[10:11], v[4:5], s[28:29], v[8:9]
	v_fma_f64 v[4:5], v[4:5], s[28:29], -v[8:9]
	v_mul_f64 v[8:9], v[154:155], s[40:41]
	v_fma_f64 v[158:159], v[152:153], s[46:47], v[156:157]
	v_fma_f64 v[14:15], v[152:153], s[18:19], v[12:13]
	;; [unrolled: 1-line block ×4, first 2 shown]
	v_add_f64 v[166:167], v[10:11], v[16:17]
	v_fma_f64 v[10:11], v[233:234], s[52:53], v[6:7]
	v_mul_f64 v[16:17], v[154:155], s[22:23]
	v_add_f64 v[158:159], v[158:159], v[202:203]
	v_fma_f64 v[202:203], v[224:225], s[34:35], v[188:189]
	v_fma_f64 v[188:189], v[224:225], s[34:35], -v[188:189]
	v_add_f64 v[170:171], v[4:5], v[0:1]
	v_fma_f64 v[0:1], v[233:234], s[26:27], v[6:7]
	v_mul_f64 v[4:5], v[226:227], s[28:29]
	v_add_f64 v[168:169], v[10:11], v[18:19]
	v_fma_f64 v[18:19], v[224:225], s[24:25], v[16:17]
	v_fma_f64 v[16:17], v[224:225], s[24:25], -v[16:17]
	v_add_f64 v[200:201], v[202:203], v[200:201]
	v_mul_f64 v[202:203], v[226:227], s[34:35]
	v_add_f64 v[188:189], v[188:189], v[196:197]
	v_add_f64 v[172:173], v[0:1], v[2:3]
	v_mul_f64 v[0:1], v[154:155], s[26:27]
	v_fma_f64 v[6:7], v[152:153], s[52:53], v[4:5]
	v_fma_f64 v[4:5], v[152:153], s[26:27], v[4:5]
	v_add_f64 v[16:17], v[16:17], v[204:205]
	v_fma_f64 v[10:11], v[224:225], s[20:21], v[8:9]
	v_fma_f64 v[196:197], v[152:153], s[30:31], v[202:203]
	;; [unrolled: 1-line block ×3, first 2 shown]
	v_fma_f64 v[8:9], v[224:225], s[20:21], -v[8:9]
	v_fma_f64 v[2:3], v[224:225], s[28:29], v[0:1]
	v_fma_f64 v[0:1], v[224:225], s[28:29], -v[0:1]
	v_add_f64 v[4:5], v[4:5], v[222:223]
	v_add_f64 v[12:13], v[12:13], v[214:215]
	;; [unrolled: 1-line block ×4, first 2 shown]
	v_mul_f64 v[198:199], v[154:155], s[54:55]
	v_add_f64 v[194:195], v[204:205], v[194:195]
	v_add_f64 v[2:3], v[2:3], v[228:229]
	;; [unrolled: 1-line block ×7, first 2 shown]
	v_fma_f64 v[202:203], v[224:225], s[4:5], v[198:199]
	v_fma_f64 v[198:199], v[224:225], s[4:5], -v[198:199]
	v_add_f64 v[156:157], v[156:157], v[206:207]
	v_add_f64 v[233:234], v[138:139], -v[142:143]
	v_add_f64 v[228:229], v[136:137], -v[140:141]
	v_add_f64 v[192:193], v[202:203], v[192:193]
	v_mul_f64 v[202:203], v[226:227], s[4:5]
	v_add_f64 v[186:187], v[198:199], v[186:187]
	v_fma_f64 v[198:199], v[152:153], s[54:55], v[202:203]
	v_fma_f64 v[204:205], v[152:153], s[2:3], v[202:203]
	v_add_f64 v[184:185], v[198:199], v[184:185]
	v_mul_f64 v[198:199], v[154:155], s[14:15]
	v_add_f64 v[190:191], v[204:205], v[190:191]
	v_fma_f64 v[202:203], v[224:225], s[16:17], v[198:199]
	v_fma_f64 v[198:199], v[224:225], s[16:17], -v[198:199]
	v_add_f64 v[182:183], v[202:203], v[182:183]
	v_mul_f64 v[202:203], v[226:227], s[16:17]
	v_add_f64 v[178:179], v[198:199], v[178:179]
	v_fma_f64 v[198:199], v[152:153], s[14:15], v[202:203]
	v_fma_f64 v[204:205], v[152:153], s[48:49], v[202:203]
	v_add_f64 v[180:181], v[198:199], v[180:181]
	v_mul_f64 v[198:199], v[154:155], s[36:37]
	v_mul_f64 v[154:155], v[154:155], s[42:43]
	v_add_f64 v[176:177], v[204:205], v[176:177]
	v_fma_f64 v[202:203], v[224:225], s[38:39], v[198:199]
	v_fma_f64 v[198:199], v[224:225], s[38:39], -v[198:199]
	v_add_f64 v[174:175], v[202:203], v[174:175]
	v_mul_f64 v[202:203], v[226:227], s[38:39]
	v_add_f64 v[162:163], v[198:199], v[162:163]
	v_fma_f64 v[198:199], v[152:153], s[36:37], v[202:203]
	v_fma_f64 v[204:205], v[152:153], s[50:51], v[202:203]
	v_add_f64 v[164:165], v[198:199], v[164:165]
	v_fma_f64 v[198:199], v[224:225], s[6:7], v[154:155]
	v_fma_f64 v[154:155], v[224:225], s[6:7], -v[154:155]
	v_add_f64 v[160:161], v[204:205], v[160:161]
	v_add_f64 v[224:225], v[136:137], v[140:141]
	v_mul_f64 v[140:141], v[233:234], s[36:37]
	v_add_f64 v[166:167], v[198:199], v[166:167]
	v_mul_f64 v[198:199], v[226:227], s[6:7]
	v_add_f64 v[154:155], v[154:155], v[170:171]
	v_add_f64 v[170:171], v[144:145], v[148:149]
	v_add_f64 v[144:145], v[144:145], -v[148:149]
	v_add_f64 v[226:227], v[138:139], v[142:143]
	v_fma_f64 v[136:137], v[224:225], s[38:39], v[140:141]
	v_fma_f64 v[202:203], v[152:153], s[8:9], v[198:199]
	;; [unrolled: 1-line block ×3, first 2 shown]
	v_add_f64 v[168:169], v[202:203], v[168:169]
	v_add_f64 v[152:153], v[152:153], v[172:173]
	;; [unrolled: 1-line block ×3, first 2 shown]
	v_add_f64 v[146:147], v[146:147], -v[150:151]
	v_mul_f64 v[148:149], v[146:147], s[30:31]
	v_fma_f64 v[150:151], v[170:171], s[34:35], v[148:149]
	v_fma_f64 v[148:149], v[170:171], s[34:35], -v[148:149]
	v_add_f64 v[2:3], v[150:151], v[2:3]
	v_mul_f64 v[150:151], v[172:173], s[34:35]
	v_add_f64 v[0:1], v[148:149], v[0:1]
	v_add_f64 v[136:137], v[136:137], v[2:3]
	v_fma_f64 v[148:149], v[144:145], s[30:31], v[150:151]
	v_fma_f64 v[198:199], v[144:145], s[44:45], v[150:151]
	v_mul_f64 v[2:3], v[226:227], s[38:39]
	v_add_f64 v[4:5], v[148:149], v[4:5]
	v_mul_f64 v[148:149], v[146:147], s[42:43]
	v_add_f64 v[6:7], v[198:199], v[6:7]
	v_fma_f64 v[138:139], v[228:229], s[50:51], v[2:3]
	v_fma_f64 v[150:151], v[170:171], s[6:7], v[148:149]
	v_fma_f64 v[148:149], v[170:171], s[6:7], -v[148:149]
	v_add_f64 v[138:139], v[138:139], v[6:7]
	v_fma_f64 v[6:7], v[224:225], s[38:39], -v[140:141]
	v_add_f64 v[10:11], v[150:151], v[10:11]
	v_mul_f64 v[150:151], v[172:173], s[6:7]
	v_add_f64 v[8:9], v[148:149], v[8:9]
	v_add_f64 v[140:141], v[6:7], v[0:1]
	v_fma_f64 v[0:1], v[228:229], s[36:37], v[2:3]
	v_fma_f64 v[148:149], v[144:145], s[42:43], v[150:151]
	;; [unrolled: 1-line block ×3, first 2 shown]
	v_add_f64 v[142:143], v[0:1], v[4:5]
	v_mul_f64 v[0:1], v[233:234], s[46:47]
	v_add_f64 v[12:13], v[148:149], v[12:13]
	v_mul_f64 v[148:149], v[146:147], s[2:3]
	v_add_f64 v[14:15], v[198:199], v[14:15]
	v_fma_f64 v[2:3], v[224:225], s[24:25], v[0:1]
	v_fma_f64 v[0:1], v[224:225], s[24:25], -v[0:1]
	v_fma_f64 v[150:151], v[170:171], s[4:5], v[148:149]
	v_fma_f64 v[148:149], v[170:171], s[4:5], -v[148:149]
	v_add_f64 v[18:19], v[150:151], v[18:19]
	v_mul_f64 v[150:151], v[172:173], s[4:5]
	v_add_f64 v[16:17], v[148:149], v[16:17]
	v_fma_f64 v[198:199], v[144:145], s[54:55], v[150:151]
	v_fma_f64 v[148:149], v[144:145], s[2:3], v[150:151]
	v_add_f64 v[158:159], v[198:199], v[158:159]
	v_add_f64 v[198:199], v[148:149], v[156:157]
	v_mul_f64 v[148:149], v[146:147], s[52:53]
	v_fma_f64 v[150:151], v[170:171], s[28:29], v[148:149]
	v_fma_f64 v[148:149], v[170:171], s[28:29], -v[148:149]
	v_add_f64 v[200:201], v[150:151], v[200:201]
	v_mul_f64 v[150:151], v[172:173], s[28:29]
	v_add_f64 v[188:189], v[148:149], v[188:189]
	v_fma_f64 v[148:149], v[144:145], s[52:53], v[150:151]
	v_fma_f64 v[156:157], v[144:145], s[26:27], v[150:151]
	v_add_f64 v[196:197], v[148:149], v[196:197]
	v_mul_f64 v[148:149], v[146:147], s[22:23]
	v_add_f64 v[194:195], v[156:157], v[194:195]
	v_fma_f64 v[150:151], v[170:171], s[24:25], v[148:149]
	v_fma_f64 v[148:149], v[170:171], s[24:25], -v[148:149]
	v_add_f64 v[192:193], v[150:151], v[192:193]
	v_mul_f64 v[150:151], v[172:173], s[24:25]
	v_add_f64 v[186:187], v[148:149], v[186:187]
	v_fma_f64 v[148:149], v[144:145], s[22:23], v[150:151]
	v_fma_f64 v[156:157], v[144:145], s[46:47], v[150:151]
	v_add_f64 v[184:185], v[148:149], v[184:185]
	v_mul_f64 v[148:149], v[146:147], s[36:37]
	v_add_f64 v[190:191], v[156:157], v[190:191]
	v_fma_f64 v[150:151], v[170:171], s[38:39], v[148:149]
	v_fma_f64 v[148:149], v[170:171], s[38:39], -v[148:149]
	v_add_f64 v[182:183], v[150:151], v[182:183]
	v_mul_f64 v[150:151], v[172:173], s[38:39]
	v_add_f64 v[204:205], v[148:149], v[178:179]
	v_fma_f64 v[148:149], v[144:145], s[36:37], v[150:151]
	v_fma_f64 v[156:157], v[144:145], s[50:51], v[150:151]
	v_add_f64 v[206:207], v[148:149], v[180:181]
	v_mul_f64 v[148:149], v[146:147], s[48:49]
	v_mul_f64 v[146:147], v[146:147], s[18:19]
	v_add_f64 v[202:203], v[156:157], v[176:177]
	v_fma_f64 v[150:151], v[170:171], s[16:17], v[148:149]
	v_fma_f64 v[148:149], v[170:171], s[16:17], -v[148:149]
	v_add_f64 v[208:209], v[150:151], v[174:175]
	v_mul_f64 v[150:151], v[172:173], s[16:17]
	v_add_f64 v[212:213], v[148:149], v[162:163]
	v_fma_f64 v[148:149], v[144:145], s[48:49], v[150:151]
	v_fma_f64 v[156:157], v[144:145], s[14:15], v[150:151]
	v_add_f64 v[214:215], v[148:149], v[164:165]
	v_fma_f64 v[148:149], v[170:171], s[20:21], v[146:147]
	v_fma_f64 v[146:147], v[170:171], s[20:21], -v[146:147]
	v_add_f64 v[210:211], v[156:157], v[160:161]
	v_add_f64 v[216:217], v[148:149], v[166:167]
	v_mul_f64 v[148:149], v[172:173], s[20:21]
	v_add_f64 v[220:221], v[146:147], v[154:155]
	v_fma_f64 v[150:151], v[144:145], s[40:41], v[148:149]
	v_fma_f64 v[144:145], v[144:145], s[18:19], v[148:149]
	v_add_f64 v[148:149], v[0:1], v[8:9]
	v_add_f64 v[218:219], v[150:151], v[168:169]
	;; [unrolled: 1-line block ×4, first 2 shown]
	v_mul_f64 v[2:3], v[226:227], s[24:25]
	v_fma_f64 v[0:1], v[228:229], s[46:47], v[2:3]
	v_fma_f64 v[4:5], v[228:229], s[22:23], v[2:3]
	v_add_f64 v[150:151], v[0:1], v[12:13]
	v_mul_f64 v[0:1], v[233:234], s[30:31]
	v_add_f64 v[146:147], v[4:5], v[14:15]
	v_fma_f64 v[2:3], v[224:225], s[34:35], v[0:1]
	v_fma_f64 v[0:1], v[224:225], s[34:35], -v[0:1]
	v_add_f64 v[152:153], v[2:3], v[18:19]
	v_mul_f64 v[2:3], v[226:227], s[34:35]
	v_add_f64 v[156:157], v[0:1], v[16:17]
	v_fma_f64 v[4:5], v[228:229], s[44:45], v[2:3]
	v_fma_f64 v[0:1], v[228:229], s[30:31], v[2:3]
	v_add_f64 v[154:155], v[4:5], v[158:159]
	v_add_f64 v[158:159], v[0:1], v[198:199]
	v_mul_f64 v[0:1], v[233:234], s[48:49]
	v_fma_f64 v[2:3], v[224:225], s[16:17], v[0:1]
	v_fma_f64 v[0:1], v[224:225], s[16:17], -v[0:1]
	v_add_f64 v[160:161], v[2:3], v[200:201]
	v_mul_f64 v[2:3], v[226:227], s[16:17]
	v_add_f64 v[164:165], v[0:1], v[188:189]
	v_fma_f64 v[0:1], v[228:229], s[48:49], v[2:3]
	v_fma_f64 v[4:5], v[228:229], s[14:15], v[2:3]
	v_add_f64 v[166:167], v[0:1], v[196:197]
	v_mul_f64 v[0:1], v[233:234], s[26:27]
	v_add_f64 v[162:163], v[4:5], v[194:195]
	v_fma_f64 v[2:3], v[224:225], s[28:29], v[0:1]
	v_fma_f64 v[0:1], v[224:225], s[28:29], -v[0:1]
	v_add_f64 v[168:169], v[2:3], v[192:193]
	v_mul_f64 v[2:3], v[226:227], s[28:29]
	v_add_f64 v[172:173], v[0:1], v[186:187]
	v_fma_f64 v[0:1], v[228:229], s[26:27], v[2:3]
	v_fma_f64 v[4:5], v[228:229], s[52:53], v[2:3]
	v_add_f64 v[174:175], v[0:1], v[184:185]
	v_mul_f64 v[0:1], v[233:234], s[42:43]
	v_add_f64 v[170:171], v[4:5], v[190:191]
	;; [unrolled: 10-line block ×4, first 2 shown]
	v_fma_f64 v[2:3], v[224:225], s[4:5], v[0:1]
	v_fma_f64 v[0:1], v[224:225], s[4:5], -v[0:1]
	v_add_f64 v[194:195], v[2:3], v[216:217]
	v_mul_f64 v[2:3], v[226:227], s[4:5]
	v_add_f64 v[198:199], v[0:1], v[220:221]
	v_fma_f64 v[4:5], v[228:229], s[2:3], v[2:3]
	v_fma_f64 v[0:1], v[228:229], s[54:55], v[2:3]
	v_add_f64 v[196:197], v[4:5], v[218:219]
	v_add_f64 v[200:201], v[0:1], v[222:223]
	ds_write_b128 v232, v[132:135]
	ds_write_b128 v232, v[136:139] offset:16
	ds_write_b128 v232, v[144:147] offset:32
	;; [unrolled: 1-line block ×16, first 2 shown]
	s_waitcnt lgkmcnt(0)
	s_barrier
	ds_read_b128 v[132:135], v230
	ds_read_b128 v[136:139], v230 offset:272
	ds_read_b128 v[140:143], v230 offset:544
	;; [unrolled: 1-line block ×16, first 2 shown]
	s_waitcnt lgkmcnt(14)
	v_mul_f64 v[4:5], v[78:79], v[142:143]
	v_mul_f64 v[2:3], v[94:95], v[136:137]
	;; [unrolled: 1-line block ×3, first 2 shown]
	s_waitcnt lgkmcnt(0)
	v_mul_f64 v[6:7], v[114:115], v[206:207]
	v_fma_f64 v[148:149], v[76:77], v[140:141], v[4:5]
	v_mul_f64 v[4:5], v[78:79], v[140:141]
	v_fma_f64 v[2:3], v[92:93], v[138:139], -v[2:3]
	v_fma_f64 v[0:1], v[92:93], v[136:137], v[0:1]
	v_fma_f64 v[6:7], v[112:113], v[208:209], -v[6:7]
	v_fma_f64 v[146:147], v[76:77], v[142:143], -v[4:5]
	v_mul_f64 v[4:5], v[74:75], v[152:153]
	v_add_f64 v[10:11], v[134:135], v[2:3]
	v_add_f64 v[8:9], v[132:133], v[0:1]
	v_fma_f64 v[144:145], v[72:73], v[150:151], v[4:5]
	v_mul_f64 v[4:5], v[74:75], v[150:151]
	v_add_f64 v[10:11], v[10:11], v[146:147]
	v_add_f64 v[8:9], v[8:9], v[148:149]
	v_fma_f64 v[142:143], v[72:73], v[152:153], -v[4:5]
	v_mul_f64 v[4:5], v[70:71], v[156:157]
	v_add_f64 v[8:9], v[8:9], v[144:145]
	v_add_f64 v[10:11], v[10:11], v[142:143]
	v_fma_f64 v[140:141], v[68:69], v[154:155], v[4:5]
	v_mul_f64 v[4:5], v[70:71], v[154:155]
	v_add_f64 v[8:9], v[8:9], v[140:141]
	v_fma_f64 v[138:139], v[68:69], v[156:157], -v[4:5]
	v_mul_f64 v[4:5], v[110:111], v[160:161]
	v_add_f64 v[10:11], v[10:11], v[138:139]
	v_fma_f64 v[136:137], v[108:109], v[158:159], v[4:5]
	v_mul_f64 v[4:5], v[110:111], v[158:159]
	v_add_f64 v[8:9], v[8:9], v[136:137]
	v_fma_f64 v[108:109], v[108:109], v[160:161], -v[4:5]
	v_mul_f64 v[4:5], v[90:91], v[164:165]
	;; [unrolled: 6-line block ×12, first 2 shown]
	v_add_f64 v[10:11], v[10:11], v[110:111]
	v_fma_f64 v[4:5], v[112:113], v[206:207], v[4:5]
	v_add_f64 v[70:71], v[10:11], v[6:7]
	v_add_f64 v[10:11], v[2:3], v[6:7]
	v_add_f64 v[2:3], v[2:3], -v[6:7]
	v_add_f64 v[68:69], v[8:9], v[4:5]
	v_add_f64 v[8:9], v[0:1], v[4:5]
	v_add_f64 v[0:1], v[0:1], -v[4:5]
	v_mul_f64 v[12:13], v[10:11], s[24:25]
	v_mul_f64 v[4:5], v[2:3], s[22:23]
	;; [unrolled: 1-line block ×16, first 2 shown]
	v_fma_f64 v[6:7], v[8:9], s[24:25], v[4:5]
	v_fma_f64 v[14:15], v[0:1], s[46:47], v[12:13]
	v_fma_f64 v[4:5], v[8:9], s[24:25], -v[4:5]
	v_fma_f64 v[12:13], v[0:1], s[22:23], v[12:13]
	v_fma_f64 v[18:19], v[8:9], s[16:17], v[16:17]
	v_fma_f64 v[114:115], v[0:1], s[48:49], v[112:113]
	v_fma_f64 v[16:17], v[8:9], s[16:17], -v[16:17]
	v_fma_f64 v[112:113], v[0:1], s[14:15], v[112:113]
	v_fma_f64 v[118:119], v[8:9], s[6:7], v[116:117]
	v_fma_f64 v[124:125], v[0:1], s[42:43], v[122:123]
	v_fma_f64 v[116:117], v[8:9], s[6:7], -v[116:117]
	v_fma_f64 v[122:123], v[0:1], s[8:9], v[122:123]
	v_fma_f64 v[128:129], v[8:9], s[4:5], v[126:127]
	v_fma_f64 v[150:151], v[0:1], s[54:55], v[130:131]
	v_fma_f64 v[126:127], v[8:9], s[4:5], -v[126:127]
	v_fma_f64 v[130:131], v[0:1], s[2:3], v[130:131]
	v_fma_f64 v[154:155], v[8:9], s[20:21], v[152:153]
	v_fma_f64 v[158:159], v[0:1], s[40:41], v[156:157]
	v_fma_f64 v[152:153], v[8:9], s[20:21], -v[152:153]
	v_fma_f64 v[156:157], v[0:1], s[18:19], v[156:157]
	v_fma_f64 v[162:163], v[8:9], s[28:29], v[160:161]
	v_fma_f64 v[166:167], v[0:1], s[52:53], v[164:165]
	v_fma_f64 v[160:161], v[8:9], s[28:29], -v[160:161]
	v_fma_f64 v[164:165], v[0:1], s[26:27], v[164:165]
	v_fma_f64 v[170:171], v[8:9], s[34:35], v[168:169]
	v_fma_f64 v[174:175], v[0:1], s[44:45], v[172:173]
	v_fma_f64 v[168:169], v[8:9], s[34:35], -v[168:169]
	v_fma_f64 v[172:173], v[0:1], s[30:31], v[172:173]
	v_fma_f64 v[176:177], v[8:9], s[38:39], v[2:3]
	v_fma_f64 v[178:179], v[0:1], s[50:51], v[10:11]
	v_fma_f64 v[2:3], v[8:9], s[38:39], -v[2:3]
	v_fma_f64 v[0:1], v[0:1], s[36:37], v[10:11]
	v_add_f64 v[10:11], v[146:147], v[110:111]
	v_add_f64 v[110:111], v[146:147], -v[110:111]
	v_add_f64 v[6:7], v[132:133], v[6:7]
	v_add_f64 v[4:5], v[132:133], v[4:5]
	v_add_f64 v[18:19], v[132:133], v[18:19]
	v_add_f64 v[16:17], v[132:133], v[16:17]
	v_add_f64 v[118:119], v[132:133], v[118:119]
	v_add_f64 v[116:117], v[132:133], v[116:117]
	v_add_f64 v[128:129], v[132:133], v[128:129]
	v_add_f64 v[126:127], v[132:133], v[126:127]
	v_add_f64 v[154:155], v[132:133], v[154:155]
	v_add_f64 v[152:153], v[132:133], v[152:153]
	v_add_f64 v[162:163], v[132:133], v[162:163]
	v_add_f64 v[160:161], v[132:133], v[160:161]
	v_add_f64 v[170:171], v[132:133], v[170:171]
	v_add_f64 v[168:169], v[132:133], v[168:169]
	v_add_f64 v[176:177], v[132:133], v[176:177]
	v_add_f64 v[2:3], v[132:133], v[2:3]
	v_add_f64 v[8:9], v[148:149], v[120:121]
	v_mul_f64 v[132:133], v[110:111], s[14:15]
	v_add_f64 v[14:15], v[134:135], v[14:15]
	v_add_f64 v[12:13], v[134:135], v[12:13]
	;; [unrolled: 1-line block ×16, first 2 shown]
	v_fma_f64 v[134:135], v[8:9], s[16:17], v[132:133]
	v_add_f64 v[120:121], v[148:149], -v[120:121]
	v_fma_f64 v[132:133], v[8:9], s[16:17], -v[132:133]
	v_mul_f64 v[148:149], v[10:11], s[34:35]
	v_add_f64 v[6:7], v[134:135], v[6:7]
	v_mul_f64 v[134:135], v[10:11], s[16:17]
	v_add_f64 v[4:5], v[132:133], v[4:5]
	v_fma_f64 v[132:133], v[120:121], s[14:15], v[134:135]
	v_fma_f64 v[146:147], v[120:121], s[48:49], v[134:135]
	v_add_f64 v[12:13], v[132:133], v[12:13]
	v_mul_f64 v[132:133], v[110:111], s[2:3]
	v_add_f64 v[14:15], v[146:147], v[14:15]
	v_fma_f64 v[134:135], v[8:9], s[4:5], v[132:133]
	v_fma_f64 v[132:133], v[8:9], s[4:5], -v[132:133]
	v_add_f64 v[18:19], v[134:135], v[18:19]
	v_mul_f64 v[134:135], v[10:11], s[4:5]
	v_add_f64 v[16:17], v[132:133], v[16:17]
	v_fma_f64 v[132:133], v[120:121], s[2:3], v[134:135]
	v_fma_f64 v[146:147], v[120:121], s[54:55], v[134:135]
	v_add_f64 v[112:113], v[132:133], v[112:113]
	v_mul_f64 v[132:133], v[110:111], s[26:27]
	v_add_f64 v[114:115], v[146:147], v[114:115]
	v_fma_f64 v[134:135], v[8:9], s[28:29], v[132:133]
	v_fma_f64 v[132:133], v[8:9], s[28:29], -v[132:133]
	;; [unrolled: 10-line block ×3, first 2 shown]
	v_add_f64 v[128:129], v[134:135], v[128:129]
	v_mul_f64 v[134:135], v[10:11], s[38:39]
	v_add_f64 v[126:127], v[132:133], v[126:127]
	v_fma_f64 v[132:133], v[120:121], s[36:37], v[134:135]
	v_fma_f64 v[146:147], v[120:121], s[50:51], v[134:135]
	v_add_f64 v[130:131], v[132:133], v[130:131]
	v_mul_f64 v[132:133], v[110:111], s[44:45]
	v_add_f64 v[146:147], v[146:147], v[150:151]
	v_fma_f64 v[150:151], v[120:121], s[30:31], v[148:149]
	v_fma_f64 v[148:149], v[120:121], s[44:45], v[148:149]
	;; [unrolled: 1-line block ×3, first 2 shown]
	v_fma_f64 v[132:133], v[8:9], s[34:35], -v[132:133]
	v_add_f64 v[150:151], v[150:151], v[158:159]
	v_add_f64 v[148:149], v[148:149], v[156:157]
	v_mul_f64 v[156:157], v[10:11], s[20:21]
	v_add_f64 v[134:135], v[134:135], v[154:155]
	v_add_f64 v[132:133], v[132:133], v[152:153]
	v_mul_f64 v[152:153], v[110:111], s[40:41]
	v_fma_f64 v[158:159], v[120:121], s[18:19], v[156:157]
	v_fma_f64 v[156:157], v[120:121], s[40:41], v[156:157]
	;; [unrolled: 1-line block ×3, first 2 shown]
	v_fma_f64 v[152:153], v[8:9], s[20:21], -v[152:153]
	v_add_f64 v[158:159], v[158:159], v[166:167]
	v_add_f64 v[156:157], v[156:157], v[164:165]
	v_mul_f64 v[164:165], v[10:11], s[6:7]
	v_mul_f64 v[10:11], v[10:11], s[24:25]
	v_add_f64 v[154:155], v[154:155], v[162:163]
	v_add_f64 v[152:153], v[152:153], v[160:161]
	v_mul_f64 v[160:161], v[110:111], s[42:43]
	v_mul_f64 v[110:111], v[110:111], s[46:47]
	v_fma_f64 v[166:167], v[120:121], s[8:9], v[164:165]
	v_fma_f64 v[164:165], v[120:121], s[42:43], v[164:165]
	;; [unrolled: 1-line block ×3, first 2 shown]
	v_fma_f64 v[160:161], v[8:9], s[6:7], -v[160:161]
	v_add_f64 v[166:167], v[166:167], v[174:175]
	v_add_f64 v[164:165], v[164:165], v[172:173]
	;; [unrolled: 1-line block ×4, first 2 shown]
	v_fma_f64 v[168:169], v[8:9], s[24:25], v[110:111]
	v_fma_f64 v[8:9], v[8:9], s[24:25], -v[110:111]
	v_fma_f64 v[170:171], v[120:121], s[22:23], v[10:11]
	v_add_f64 v[168:169], v[168:169], v[176:177]
	v_add_f64 v[2:3], v[8:9], v[2:3]
	v_fma_f64 v[8:9], v[120:121], s[46:47], v[10:11]
	v_add_f64 v[10:11], v[142:143], v[104:105]
	v_add_f64 v[104:105], v[142:143], -v[104:105]
	v_add_f64 v[170:171], v[170:171], v[178:179]
	v_add_f64 v[0:1], v[8:9], v[0:1]
	;; [unrolled: 1-line block ×3, first 2 shown]
	v_mul_f64 v[110:111], v[104:105], s[8:9]
	v_add_f64 v[106:107], v[144:145], -v[106:107]
	v_fma_f64 v[120:121], v[8:9], s[6:7], v[110:111]
	v_fma_f64 v[110:111], v[8:9], s[6:7], -v[110:111]
	v_add_f64 v[6:7], v[120:121], v[6:7]
	v_mul_f64 v[120:121], v[10:11], s[6:7]
	v_add_f64 v[4:5], v[110:111], v[4:5]
	v_fma_f64 v[110:111], v[106:107], s[8:9], v[120:121]
	v_fma_f64 v[142:143], v[106:107], s[42:43], v[120:121]
	v_add_f64 v[12:13], v[110:111], v[12:13]
	v_mul_f64 v[110:111], v[104:105], s[26:27]
	v_add_f64 v[14:15], v[142:143], v[14:15]
	v_fma_f64 v[120:121], v[8:9], s[28:29], v[110:111]
	v_fma_f64 v[110:111], v[8:9], s[28:29], -v[110:111]
	v_add_f64 v[18:19], v[120:121], v[18:19]
	v_mul_f64 v[120:121], v[10:11], s[28:29]
	v_add_f64 v[16:17], v[110:111], v[16:17]
	v_fma_f64 v[110:111], v[106:107], s[26:27], v[120:121]
	v_fma_f64 v[142:143], v[106:107], s[52:53], v[120:121]
	v_add_f64 v[110:111], v[110:111], v[112:113]
	v_mul_f64 v[112:113], v[104:105], s[50:51]
	v_add_f64 v[114:115], v[142:143], v[114:115]
	v_fma_f64 v[120:121], v[8:9], s[38:39], v[112:113]
	v_fma_f64 v[112:113], v[8:9], s[38:39], -v[112:113]
	v_add_f64 v[118:119], v[120:121], v[118:119]
	v_mul_f64 v[120:121], v[10:11], s[38:39]
	v_add_f64 v[112:113], v[112:113], v[116:117]
	v_fma_f64 v[142:143], v[106:107], s[36:37], v[120:121]
	v_fma_f64 v[116:117], v[106:107], s[50:51], v[120:121]
	v_mul_f64 v[120:121], v[104:105], s[40:41]
	v_add_f64 v[124:125], v[142:143], v[124:125]
	v_add_f64 v[116:117], v[116:117], v[122:123]
	v_fma_f64 v[122:123], v[8:9], s[20:21], v[120:121]
	v_fma_f64 v[120:121], v[8:9], s[20:21], -v[120:121]
	v_add_f64 v[122:123], v[122:123], v[128:129]
	v_mul_f64 v[128:129], v[10:11], s[20:21]
	v_add_f64 v[120:121], v[120:121], v[126:127]
	v_fma_f64 v[142:143], v[106:107], s[18:19], v[128:129]
	v_fma_f64 v[126:127], v[106:107], s[40:41], v[128:129]
	v_mul_f64 v[128:129], v[104:105], s[48:49]
	v_add_f64 v[142:143], v[142:143], v[146:147]
	;; [unrolled: 10-line block ×3, first 2 shown]
	v_add_f64 v[132:133], v[132:133], v[148:149]
	v_fma_f64 v[146:147], v[8:9], s[24:25], v[134:135]
	v_fma_f64 v[134:135], v[8:9], s[24:25], -v[134:135]
	v_mul_f64 v[148:149], v[10:11], s[24:25]
	v_add_f64 v[146:147], v[146:147], v[154:155]
	v_add_f64 v[134:135], v[134:135], v[152:153]
	v_mul_f64 v[152:153], v[104:105], s[2:3]
	v_fma_f64 v[150:151], v[106:107], s[46:47], v[148:149]
	v_fma_f64 v[148:149], v[106:107], s[22:23], v[148:149]
	v_mul_f64 v[104:105], v[104:105], s[30:31]
	v_fma_f64 v[154:155], v[8:9], s[4:5], v[152:153]
	v_fma_f64 v[152:153], v[8:9], s[4:5], -v[152:153]
	v_add_f64 v[148:149], v[148:149], v[156:157]
	v_mul_f64 v[156:157], v[10:11], s[4:5]
	v_mul_f64 v[10:11], v[10:11], s[34:35]
	v_add_f64 v[150:151], v[150:151], v[158:159]
	v_add_f64 v[154:155], v[154:155], v[162:163]
	;; [unrolled: 1-line block ×3, first 2 shown]
	v_fma_f64 v[160:161], v[8:9], s[34:35], v[104:105]
	v_fma_f64 v[8:9], v[8:9], s[34:35], -v[104:105]
	v_fma_f64 v[162:163], v[106:107], s[44:45], v[10:11]
	v_fma_f64 v[158:159], v[106:107], s[54:55], v[156:157]
	;; [unrolled: 1-line block ×3, first 2 shown]
	v_add_f64 v[160:161], v[160:161], v[168:169]
	v_add_f64 v[2:3], v[8:9], v[2:3]
	v_fma_f64 v[8:9], v[106:107], s[30:31], v[10:11]
	v_add_f64 v[10:11], v[138:139], v[98:99]
	v_add_f64 v[98:99], v[138:139], -v[98:99]
	v_add_f64 v[156:157], v[156:157], v[164:165]
	v_add_f64 v[162:163], v[162:163], v[170:171]
	;; [unrolled: 1-line block ×5, first 2 shown]
	v_mul_f64 v[104:105], v[98:99], s[2:3]
	v_add_f64 v[102:103], v[140:141], -v[102:103]
	v_fma_f64 v[106:107], v[8:9], s[4:5], v[104:105]
	v_fma_f64 v[104:105], v[8:9], s[4:5], -v[104:105]
	v_add_f64 v[6:7], v[106:107], v[6:7]
	v_mul_f64 v[106:107], v[10:11], s[4:5]
	v_add_f64 v[4:5], v[104:105], v[4:5]
	v_fma_f64 v[104:105], v[102:103], s[2:3], v[106:107]
	v_fma_f64 v[138:139], v[102:103], s[54:55], v[106:107]
	v_add_f64 v[12:13], v[104:105], v[12:13]
	v_mul_f64 v[104:105], v[98:99], s[36:37]
	v_add_f64 v[14:15], v[138:139], v[14:15]
	v_fma_f64 v[106:107], v[8:9], s[38:39], v[104:105]
	v_fma_f64 v[104:105], v[8:9], s[38:39], -v[104:105]
	v_add_f64 v[18:19], v[106:107], v[18:19]
	v_mul_f64 v[106:107], v[10:11], s[38:39]
	v_add_f64 v[16:17], v[104:105], v[16:17]
	v_fma_f64 v[138:139], v[102:103], s[50:51], v[106:107]
	v_fma_f64 v[104:105], v[102:103], s[36:37], v[106:107]
	v_mul_f64 v[106:107], v[98:99], s[40:41]
	v_add_f64 v[114:115], v[138:139], v[114:115]
	v_add_f64 v[104:105], v[104:105], v[110:111]
	v_fma_f64 v[110:111], v[8:9], s[20:21], v[106:107]
	v_fma_f64 v[106:107], v[8:9], s[20:21], -v[106:107]
	v_add_f64 v[110:111], v[110:111], v[118:119]
	v_mul_f64 v[118:119], v[10:11], s[20:21]
	v_add_f64 v[106:107], v[106:107], v[112:113]
	v_fma_f64 v[112:113], v[102:103], s[40:41], v[118:119]
	v_fma_f64 v[138:139], v[102:103], s[18:19], v[118:119]
	v_add_f64 v[112:113], v[112:113], v[116:117]
	v_mul_f64 v[116:117], v[98:99], s[46:47]
	v_add_f64 v[124:125], v[138:139], v[124:125]
	v_fma_f64 v[118:119], v[8:9], s[24:25], v[116:117]
	v_fma_f64 v[116:117], v[8:9], s[24:25], -v[116:117]
	v_add_f64 v[118:119], v[118:119], v[122:123]
	v_mul_f64 v[122:123], v[10:11], s[24:25]
	v_add_f64 v[116:117], v[116:117], v[120:121]
	v_fma_f64 v[138:139], v[102:103], s[22:23], v[122:123]
	v_fma_f64 v[120:121], v[102:103], s[46:47], v[122:123]
	v_mul_f64 v[122:123], v[98:99], s[8:9]
	v_add_f64 v[138:139], v[138:139], v[142:143]
	v_add_f64 v[120:121], v[120:121], v[126:127]
	v_fma_f64 v[126:127], v[8:9], s[6:7], v[122:123]
	v_fma_f64 v[122:123], v[8:9], s[6:7], -v[122:123]
	v_mul_f64 v[142:143], v[10:11], s[34:35]
	v_add_f64 v[126:127], v[126:127], v[130:131]
	v_mul_f64 v[130:131], v[10:11], s[6:7]
	v_add_f64 v[122:123], v[122:123], v[128:129]
	v_fma_f64 v[140:141], v[102:103], s[42:43], v[130:131]
	v_fma_f64 v[128:129], v[102:103], s[8:9], v[130:131]
	v_mul_f64 v[130:131], v[98:99], s[30:31]
	v_add_f64 v[140:141], v[140:141], v[144:145]
	v_add_f64 v[128:129], v[128:129], v[132:133]
	v_fma_f64 v[132:133], v[8:9], s[34:35], v[130:131]
	v_fma_f64 v[130:131], v[8:9], s[34:35], -v[130:131]
	v_fma_f64 v[144:145], v[102:103], s[44:45], v[142:143]
	v_add_f64 v[132:133], v[132:133], v[146:147]
	v_add_f64 v[130:131], v[130:131], v[134:135]
	v_fma_f64 v[134:135], v[102:103], s[30:31], v[142:143]
	v_mul_f64 v[142:143], v[98:99], s[52:53]
	v_mul_f64 v[98:99], v[98:99], s[48:49]
	v_add_f64 v[144:145], v[144:145], v[150:151]
	v_add_f64 v[134:135], v[134:135], v[148:149]
	v_fma_f64 v[146:147], v[8:9], s[28:29], v[142:143]
	v_fma_f64 v[142:143], v[8:9], s[28:29], -v[142:143]
	v_mul_f64 v[148:149], v[10:11], s[28:29]
	v_mul_f64 v[10:11], v[10:11], s[16:17]
	v_add_f64 v[146:147], v[146:147], v[154:155]
	v_add_f64 v[142:143], v[142:143], v[152:153]
	v_fma_f64 v[152:153], v[8:9], s[16:17], v[98:99]
	v_fma_f64 v[8:9], v[8:9], s[16:17], -v[98:99]
	v_fma_f64 v[154:155], v[102:103], s[14:15], v[10:11]
	v_add_f64 v[98:99], v[136:137], -v[100:101]
	v_fma_f64 v[150:151], v[102:103], s[26:27], v[148:149]
	v_fma_f64 v[148:149], v[102:103], s[52:53], v[148:149]
	v_add_f64 v[152:153], v[152:153], v[160:161]
	v_add_f64 v[2:3], v[8:9], v[2:3]
	v_fma_f64 v[8:9], v[102:103], s[48:49], v[10:11]
	v_add_f64 v[10:11], v[108:109], v[96:97]
	v_add_f64 v[96:97], v[108:109], -v[96:97]
	v_add_f64 v[148:149], v[148:149], v[156:157]
	v_add_f64 v[154:155], v[154:155], v[162:163]
	;; [unrolled: 1-line block ×5, first 2 shown]
	v_mul_f64 v[100:101], v[96:97], s[18:19]
	v_fma_f64 v[102:103], v[8:9], s[20:21], v[100:101]
	v_fma_f64 v[100:101], v[8:9], s[20:21], -v[100:101]
	v_add_f64 v[6:7], v[102:103], v[6:7]
	v_mul_f64 v[102:103], v[10:11], s[20:21]
	v_add_f64 v[4:5], v[100:101], v[4:5]
	v_fma_f64 v[100:101], v[98:99], s[18:19], v[102:103]
	v_fma_f64 v[108:109], v[98:99], s[40:41], v[102:103]
	v_add_f64 v[12:13], v[100:101], v[12:13]
	v_mul_f64 v[100:101], v[96:97], s[44:45]
	v_add_f64 v[14:15], v[108:109], v[14:15]
	v_fma_f64 v[102:103], v[8:9], s[34:35], v[100:101]
	v_fma_f64 v[100:101], v[8:9], s[34:35], -v[100:101]
	v_add_f64 v[18:19], v[102:103], v[18:19]
	v_mul_f64 v[102:103], v[10:11], s[34:35]
	v_add_f64 v[16:17], v[100:101], v[16:17]
	v_fma_f64 v[108:109], v[98:99], s[30:31], v[102:103]
	v_fma_f64 v[100:101], v[98:99], s[44:45], v[102:103]
	v_mul_f64 v[102:103], v[96:97], s[48:49]
	v_add_f64 v[108:109], v[108:109], v[114:115]
	v_add_f64 v[100:101], v[100:101], v[104:105]
	v_fma_f64 v[104:105], v[8:9], s[16:17], v[102:103]
	v_fma_f64 v[102:103], v[8:9], s[16:17], -v[102:103]
	v_add_f64 v[104:105], v[104:105], v[110:111]
	v_mul_f64 v[110:111], v[10:11], s[16:17]
	v_add_f64 v[102:103], v[102:103], v[106:107]
	v_fma_f64 v[114:115], v[98:99], s[14:15], v[110:111]
	v_fma_f64 v[106:107], v[98:99], s[48:49], v[110:111]
	v_mul_f64 v[110:111], v[96:97], s[8:9]
	v_add_f64 v[114:115], v[114:115], v[124:125]
	;; [unrolled: 10-line block ×4, first 2 shown]
	v_add_f64 v[122:123], v[122:123], v[128:129]
	v_fma_f64 v[128:129], v[8:9], s[4:5], v[126:127]
	v_fma_f64 v[126:127], v[8:9], s[4:5], -v[126:127]
	v_mul_f64 v[140:141], v[10:11], s[24:25]
	v_add_f64 v[128:129], v[128:129], v[132:133]
	v_mul_f64 v[132:133], v[10:11], s[4:5]
	v_add_f64 v[126:127], v[126:127], v[130:131]
	v_mul_f64 v[10:11], v[10:11], s[28:29]
	v_fma_f64 v[138:139], v[98:99], s[2:3], v[132:133]
	v_fma_f64 v[130:131], v[98:99], s[54:55], v[132:133]
	v_mul_f64 v[132:133], v[96:97], s[22:23]
	v_mul_f64 v[96:97], v[96:97], s[26:27]
	v_add_f64 v[138:139], v[138:139], v[144:145]
	v_add_f64 v[130:131], v[130:131], v[134:135]
	v_fma_f64 v[134:135], v[8:9], s[24:25], v[132:133]
	v_fma_f64 v[132:133], v[8:9], s[24:25], -v[132:133]
	v_fma_f64 v[144:145], v[98:99], s[46:47], v[140:141]
	v_fma_f64 v[140:141], v[98:99], s[22:23], v[140:141]
	v_add_f64 v[134:135], v[134:135], v[146:147]
	v_add_f64 v[132:133], v[132:133], v[142:143]
	v_fma_f64 v[142:143], v[8:9], s[28:29], v[96:97]
	v_fma_f64 v[8:9], v[8:9], s[28:29], -v[96:97]
	v_fma_f64 v[146:147], v[98:99], s[52:53], v[10:11]
	v_add_f64 v[140:141], v[140:141], v[148:149]
	v_add_f64 v[144:145], v[144:145], v[150:151]
	;; [unrolled: 1-line block ×4, first 2 shown]
	v_fma_f64 v[8:9], v[98:99], s[26:27], v[10:11]
	v_add_f64 v[10:11], v[90:91], v[86:87]
	v_add_f64 v[86:87], v[90:91], -v[86:87]
	v_add_f64 v[146:147], v[146:147], v[154:155]
	v_add_f64 v[0:1], v[8:9], v[0:1]
	;; [unrolled: 1-line block ×3, first 2 shown]
	v_mul_f64 v[90:91], v[86:87], s[26:27]
	v_add_f64 v[92:93], v[92:93], -v[94:95]
	v_fma_f64 v[94:95], v[8:9], s[28:29], v[90:91]
	v_fma_f64 v[90:91], v[8:9], s[28:29], -v[90:91]
	v_add_f64 v[6:7], v[94:95], v[6:7]
	v_mul_f64 v[94:95], v[10:11], s[28:29]
	v_add_f64 v[4:5], v[90:91], v[4:5]
	v_fma_f64 v[90:91], v[92:93], s[26:27], v[94:95]
	v_fma_f64 v[96:97], v[92:93], s[52:53], v[94:95]
	v_add_f64 v[12:13], v[90:91], v[12:13]
	v_mul_f64 v[90:91], v[86:87], s[40:41]
	v_add_f64 v[14:15], v[96:97], v[14:15]
	v_fma_f64 v[94:95], v[8:9], s[20:21], v[90:91]
	v_fma_f64 v[90:91], v[8:9], s[20:21], -v[90:91]
	v_add_f64 v[18:19], v[94:95], v[18:19]
	v_mul_f64 v[94:95], v[10:11], s[20:21]
	v_add_f64 v[16:17], v[90:91], v[16:17]
	v_fma_f64 v[96:97], v[92:93], s[18:19], v[94:95]
	v_fma_f64 v[90:91], v[92:93], s[40:41], v[94:95]
	v_mul_f64 v[94:95], v[86:87], s[22:23]
	v_add_f64 v[96:97], v[96:97], v[108:109]
	v_add_f64 v[90:91], v[90:91], v[100:101]
	v_fma_f64 v[98:99], v[8:9], s[24:25], v[94:95]
	v_mul_f64 v[100:101], v[10:11], s[24:25]
	v_fma_f64 v[94:95], v[8:9], s[24:25], -v[94:95]
	v_mul_f64 v[108:109], v[10:11], s[34:35]
	v_add_f64 v[98:99], v[98:99], v[104:105]
	v_fma_f64 v[104:105], v[92:93], s[46:47], v[100:101]
	v_add_f64 v[94:95], v[94:95], v[102:103]
	v_fma_f64 v[100:101], v[92:93], s[22:23], v[100:101]
	v_mul_f64 v[102:103], v[86:87], s[30:31]
	v_add_f64 v[104:105], v[104:105], v[114:115]
	v_add_f64 v[100:101], v[100:101], v[106:107]
	v_fma_f64 v[106:107], v[8:9], s[34:35], v[102:103]
	v_fma_f64 v[102:103], v[8:9], s[34:35], -v[102:103]
	v_add_f64 v[106:107], v[106:107], v[112:113]
	v_fma_f64 v[112:113], v[92:93], s[44:45], v[108:109]
	v_add_f64 v[102:103], v[102:103], v[110:111]
	v_fma_f64 v[108:109], v[92:93], s[30:31], v[108:109]
	v_mul_f64 v[110:111], v[86:87], s[54:55]
	v_add_f64 v[112:113], v[112:113], v[124:125]
	v_mul_f64 v[124:125], v[10:11], s[16:17]
	v_add_f64 v[108:109], v[108:109], v[116:117]
	v_fma_f64 v[114:115], v[8:9], s[4:5], v[110:111]
	v_mul_f64 v[116:117], v[10:11], s[4:5]
	v_fma_f64 v[110:111], v[8:9], s[4:5], -v[110:111]
	v_add_f64 v[114:115], v[114:115], v[120:121]
	v_fma_f64 v[120:121], v[92:93], s[2:3], v[116:117]
	v_add_f64 v[110:111], v[110:111], v[118:119]
	v_fma_f64 v[116:117], v[92:93], s[54:55], v[116:117]
	v_mul_f64 v[118:119], v[86:87], s[14:15]
	v_add_f64 v[120:121], v[120:121], v[136:137]
	v_add_f64 v[116:117], v[116:117], v[122:123]
	v_fma_f64 v[122:123], v[8:9], s[16:17], v[118:119]
	v_fma_f64 v[118:119], v[8:9], s[16:17], -v[118:119]
	v_add_f64 v[122:123], v[122:123], v[128:129]
	v_fma_f64 v[128:129], v[92:93], s[48:49], v[124:125]
	v_add_f64 v[118:119], v[118:119], v[126:127]
	v_fma_f64 v[124:125], v[92:93], s[14:15], v[124:125]
	v_mul_f64 v[126:127], v[86:87], s[36:37]
	v_mul_f64 v[86:87], v[86:87], s[42:43]
	v_add_f64 v[128:129], v[128:129], v[138:139]
	v_add_f64 v[124:125], v[124:125], v[130:131]
	v_fma_f64 v[130:131], v[8:9], s[38:39], v[126:127]
	v_fma_f64 v[126:127], v[8:9], s[38:39], -v[126:127]
	v_add_f64 v[130:131], v[130:131], v[134:135]
	v_mul_f64 v[134:135], v[10:11], s[38:39]
	v_add_f64 v[126:127], v[126:127], v[132:133]
	v_mul_f64 v[10:11], v[10:11], s[6:7]
	v_fma_f64 v[136:137], v[92:93], s[50:51], v[134:135]
	v_fma_f64 v[132:133], v[92:93], s[36:37], v[134:135]
	;; [unrolled: 1-line block ×3, first 2 shown]
	v_fma_f64 v[8:9], v[8:9], s[6:7], -v[86:87]
	v_fma_f64 v[138:139], v[92:93], s[8:9], v[10:11]
	v_add_f64 v[136:137], v[136:137], v[144:145]
	v_add_f64 v[132:133], v[132:133], v[140:141]
	;; [unrolled: 1-line block ×4, first 2 shown]
	v_fma_f64 v[8:9], v[92:93], s[42:43], v[10:11]
	v_add_f64 v[10:11], v[84:85], v[80:81]
	v_add_f64 v[80:81], v[84:85], -v[80:81]
	v_add_f64 v[138:139], v[138:139], v[146:147]
	v_add_f64 v[0:1], v[8:9], v[0:1]
	;; [unrolled: 1-line block ×3, first 2 shown]
	v_mul_f64 v[84:85], v[80:81], s[30:31]
	v_add_f64 v[82:83], v[88:89], -v[82:83]
	v_mul_f64 v[92:93], v[10:11], s[4:5]
	v_fma_f64 v[86:87], v[8:9], s[34:35], v[84:85]
	v_fma_f64 v[84:85], v[8:9], s[34:35], -v[84:85]
	v_add_f64 v[6:7], v[86:87], v[6:7]
	v_mul_f64 v[86:87], v[10:11], s[34:35]
	v_add_f64 v[4:5], v[84:85], v[4:5]
	v_fma_f64 v[84:85], v[82:83], s[30:31], v[86:87]
	v_fma_f64 v[88:89], v[82:83], s[44:45], v[86:87]
	v_add_f64 v[12:13], v[84:85], v[12:13]
	v_mul_f64 v[84:85], v[80:81], s[42:43]
	v_add_f64 v[14:15], v[88:89], v[14:15]
	v_fma_f64 v[86:87], v[8:9], s[6:7], v[84:85]
	v_fma_f64 v[84:85], v[8:9], s[6:7], -v[84:85]
	v_add_f64 v[18:19], v[86:87], v[18:19]
	v_mul_f64 v[86:87], v[10:11], s[6:7]
	v_add_f64 v[16:17], v[84:85], v[16:17]
	v_fma_f64 v[84:85], v[82:83], s[42:43], v[86:87]
	v_fma_f64 v[88:89], v[82:83], s[8:9], v[86:87]
	v_add_f64 v[86:87], v[84:85], v[90:91]
	v_mul_f64 v[84:85], v[80:81], s[2:3]
	v_add_f64 v[88:89], v[88:89], v[96:97]
	v_fma_f64 v[96:97], v[82:83], s[54:55], v[92:93]
	v_fma_f64 v[90:91], v[8:9], s[4:5], v[84:85]
	v_fma_f64 v[84:85], v[8:9], s[4:5], -v[84:85]
	v_add_f64 v[96:97], v[96:97], v[104:105]
	v_add_f64 v[90:91], v[90:91], v[98:99]
	;; [unrolled: 1-line block ×3, first 2 shown]
	v_fma_f64 v[84:85], v[82:83], s[2:3], v[92:93]
	v_add_f64 v[98:99], v[84:85], v[100:101]
	v_mul_f64 v[84:85], v[80:81], s[52:53]
	v_fma_f64 v[92:93], v[8:9], s[28:29], v[84:85]
	v_fma_f64 v[84:85], v[8:9], s[28:29], -v[84:85]
	v_add_f64 v[100:101], v[92:93], v[106:107]
	v_mul_f64 v[92:93], v[10:11], s[28:29]
	v_add_f64 v[102:103], v[84:85], v[102:103]
	v_fma_f64 v[84:85], v[82:83], s[52:53], v[92:93]
	v_fma_f64 v[104:105], v[82:83], s[26:27], v[92:93]
	v_add_f64 v[106:107], v[84:85], v[108:109]
	v_mul_f64 v[84:85], v[80:81], s[22:23]
	v_add_f64 v[104:105], v[104:105], v[112:113]
	v_fma_f64 v[92:93], v[8:9], s[24:25], v[84:85]
	v_fma_f64 v[84:85], v[8:9], s[24:25], -v[84:85]
	v_add_f64 v[108:109], v[92:93], v[114:115]
	v_mul_f64 v[92:93], v[10:11], s[24:25]
	v_add_f64 v[110:111], v[84:85], v[110:111]
	v_fma_f64 v[84:85], v[82:83], s[22:23], v[92:93]
	v_fma_f64 v[112:113], v[82:83], s[46:47], v[92:93]
	v_add_f64 v[114:115], v[84:85], v[116:117]
	v_mul_f64 v[84:85], v[80:81], s[36:37]
	v_add_f64 v[112:113], v[112:113], v[120:121]
	v_fma_f64 v[92:93], v[8:9], s[38:39], v[84:85]
	v_fma_f64 v[84:85], v[8:9], s[38:39], -v[84:85]
	v_add_f64 v[116:117], v[92:93], v[122:123]
	v_mul_f64 v[92:93], v[10:11], s[38:39]
	v_add_f64 v[118:119], v[84:85], v[118:119]
	v_fma_f64 v[84:85], v[82:83], s[36:37], v[92:93]
	v_fma_f64 v[120:121], v[82:83], s[50:51], v[92:93]
	v_add_f64 v[122:123], v[84:85], v[124:125]
	v_mul_f64 v[84:85], v[80:81], s[48:49]
	v_mul_f64 v[80:81], v[80:81], s[18:19]
	v_add_f64 v[120:121], v[120:121], v[128:129]
	v_fma_f64 v[92:93], v[8:9], s[16:17], v[84:85]
	v_fma_f64 v[84:85], v[8:9], s[16:17], -v[84:85]
	v_add_f64 v[124:125], v[92:93], v[130:131]
	v_mul_f64 v[92:93], v[10:11], s[16:17]
	v_add_f64 v[126:127], v[84:85], v[126:127]
	v_mul_f64 v[10:11], v[10:11], s[20:21]
	v_fma_f64 v[84:85], v[82:83], s[48:49], v[92:93]
	v_fma_f64 v[128:129], v[82:83], s[14:15], v[92:93]
	v_add_f64 v[130:131], v[84:85], v[132:133]
	v_fma_f64 v[84:85], v[8:9], s[20:21], v[80:81]
	v_fma_f64 v[8:9], v[8:9], s[20:21], -v[80:81]
	v_add_f64 v[128:129], v[128:129], v[136:137]
	v_add_f64 v[136:137], v[76:77], -v[78:79]
	v_add_f64 v[132:133], v[84:85], v[134:135]
	v_fma_f64 v[84:85], v[82:83], s[40:41], v[10:11]
	v_add_f64 v[2:3], v[8:9], v[2:3]
	v_fma_f64 v[8:9], v[82:83], s[18:19], v[10:11]
	v_add_f64 v[10:11], v[72:73], v[74:75]
	v_add_f64 v[134:135], v[84:85], v[138:139]
	v_add_f64 v[138:139], v[72:73], -v[74:75]
	v_add_f64 v[0:1], v[8:9], v[0:1]
	v_add_f64 v[8:9], v[76:77], v[78:79]
	v_mul_f64 v[76:77], v[138:139], s[36:37]
	v_fma_f64 v[72:73], v[8:9], s[38:39], v[76:77]
	v_add_f64 v[72:73], v[72:73], v[6:7]
	v_mul_f64 v[6:7], v[10:11], s[38:39]
	v_fma_f64 v[74:75], v[136:137], s[50:51], v[6:7]
	v_add_f64 v[74:75], v[74:75], v[14:15]
	v_fma_f64 v[14:15], v[8:9], s[38:39], -v[76:77]
	v_add_f64 v[76:77], v[14:15], v[4:5]
	v_fma_f64 v[4:5], v[136:137], s[36:37], v[6:7]
	v_add_f64 v[78:79], v[4:5], v[12:13]
	v_mul_f64 v[4:5], v[138:139], s[46:47]
	v_fma_f64 v[6:7], v[8:9], s[24:25], v[4:5]
	v_fma_f64 v[4:5], v[8:9], s[24:25], -v[4:5]
	v_add_f64 v[80:81], v[6:7], v[18:19]
	v_mul_f64 v[6:7], v[10:11], s[24:25]
	v_add_f64 v[84:85], v[4:5], v[16:17]
	v_fma_f64 v[4:5], v[136:137], s[46:47], v[6:7]
	v_fma_f64 v[12:13], v[136:137], s[22:23], v[6:7]
	v_add_f64 v[86:87], v[4:5], v[86:87]
	v_mul_f64 v[4:5], v[138:139], s[30:31]
	v_add_f64 v[82:83], v[12:13], v[88:89]
	v_fma_f64 v[6:7], v[8:9], s[34:35], v[4:5]
	v_fma_f64 v[4:5], v[8:9], s[34:35], -v[4:5]
	v_add_f64 v[88:89], v[6:7], v[90:91]
	v_mul_f64 v[6:7], v[10:11], s[34:35]
	v_add_f64 v[92:93], v[4:5], v[94:95]
	v_fma_f64 v[4:5], v[136:137], s[30:31], v[6:7]
	v_fma_f64 v[12:13], v[136:137], s[44:45], v[6:7]
	v_add_f64 v[94:95], v[4:5], v[98:99]
	v_mul_f64 v[4:5], v[138:139], s[48:49]
	v_add_f64 v[90:91], v[12:13], v[96:97]
	;; [unrolled: 10-line block ×6, first 2 shown]
	v_fma_f64 v[6:7], v[8:9], s[4:5], v[4:5]
	v_fma_f64 v[4:5], v[8:9], s[4:5], -v[4:5]
	v_add_f64 v[128:129], v[6:7], v[132:133]
	v_mul_f64 v[6:7], v[10:11], s[4:5]
	v_add_f64 v[132:133], v[4:5], v[2:3]
	v_mov_b32_e32 v4, s13
	v_fma_f64 v[10:11], v[136:137], s[2:3], v[6:7]
	v_fma_f64 v[2:3], v[136:137], s[54:55], v[6:7]
	s_mov_b32 s2, 0xd10d4986
	s_mov_b32 s3, 0x3f6c5894
	v_add_f64 v[130:131], v[10:11], v[134:135]
	v_add_f64 v[134:135], v[2:3], v[0:1]
	ds_write_b128 v230, v[68:71]
	ds_write_b128 v230, v[72:75] offset:272
	ds_write_b128 v230, v[80:83] offset:544
	;; [unrolled: 1-line block ×16, first 2 shown]
	s_waitcnt lgkmcnt(0)
	s_barrier
	buffer_load_dword v2, off, s[56:59], 0 offset:88 ; 4-byte Folded Reload
	ds_read_b128 v[68:71], v230
	s_waitcnt lgkmcnt(0)
	v_mul_f64 v[0:1], v[66:67], v[70:71]
	v_fma_f64 v[0:1], v[64:65], v[68:69], v[0:1]
	v_mul_f64 v[72:73], v[0:1], s[2:3]
	v_mul_f64 v[0:1], v[66:67], v[68:69]
	v_fma_f64 v[0:1], v[64:65], v[70:71], -v[0:1]
	v_mul_f64 v[74:75], v[0:1], s[2:3]
	s_waitcnt vmcnt(0)
	v_mad_u64_u32 v[0:1], s[4:5], s0, v2, 0
	v_mad_u64_u32 v[1:2], s[4:5], s1, v2, v[1:2]
	buffer_load_dword v2, off, s[56:59], 0  ; 4-byte Folded Reload
	buffer_load_dword v3, off, s[56:59], 0 offset:4 ; 4-byte Folded Reload
	ds_read_b128 v[64:67], v230 offset:272
	v_lshlrev_b64 v[0:1], 4, v[0:1]
	s_mulk_i32 s1, 0x110
	s_mul_hi_u32 s4, s0, 0x110
	s_add_i32 s1, s4, s1
	s_mulk_i32 s0, 0x110
	s_waitcnt vmcnt(0)
	v_lshlrev_b64 v[2:3], 4, v[2:3]
	v_add_co_u32_e32 v2, vcc, s12, v2
	v_addc_co_u32_e32 v3, vcc, v4, v3, vcc
	v_add_co_u32_e32 v0, vcc, v2, v0
	v_addc_co_u32_e32 v1, vcc, v3, v1, vcc
	s_waitcnt lgkmcnt(0)
	v_mul_f64 v[2:3], v[58:59], v[66:67]
	global_store_dwordx4 v[0:1], v[72:75], off
	v_add_co_u32_e32 v0, vcc, s0, v0
	v_fma_f64 v[2:3], v[56:57], v[64:65], v[2:3]
	v_mul_f64 v[68:69], v[2:3], s[2:3]
	v_mul_f64 v[2:3], v[58:59], v[64:65]
	v_fma_f64 v[2:3], v[56:57], v[66:67], -v[2:3]
	ds_read_b128 v[56:59], v230 offset:544
	v_mul_f64 v[70:71], v[2:3], s[2:3]
	v_mov_b32_e32 v2, s1
	v_addc_co_u32_e32 v1, vcc, v1, v2, vcc
	s_waitcnt lgkmcnt(0)
	v_mul_f64 v[2:3], v[62:63], v[58:59]
	global_store_dwordx4 v[0:1], v[68:71], off
	v_add_co_u32_e32 v0, vcc, s0, v0
	v_fma_f64 v[2:3], v[60:61], v[56:57], v[2:3]
	v_mul_f64 v[64:65], v[2:3], s[2:3]
	v_mul_f64 v[2:3], v[62:63], v[56:57]
	v_fma_f64 v[2:3], v[60:61], v[58:59], -v[2:3]
	ds_read_b128 v[56:59], v230 offset:816
	v_mul_f64 v[66:67], v[2:3], s[2:3]
	v_mov_b32_e32 v2, s1
	;; [unrolled: 12-line block ×6, first 2 shown]
	v_addc_co_u32_e32 v1, vcc, v1, v2, vcc
	global_store_dwordx4 v[0:1], v[44:47], off
	buffer_load_dword v4, off, s[56:59], 0 offset:56 ; 4-byte Folded Reload
	buffer_load_dword v5, off, s[56:59], 0 offset:60 ; 4-byte Folded Reload
	;; [unrolled: 1-line block ×4, first 2 shown]
	ds_read_b128 v[16:19], v230 offset:2176
	v_add_co_u32_e32 v0, vcc, s0, v0
	s_waitcnt vmcnt(0) lgkmcnt(1)
	v_mul_f64 v[2:3], v[6:7], v[30:31]
	v_fma_f64 v[2:3], v[4:5], v[28:29], v[2:3]
	v_mul_f64 v[40:41], v[2:3], s[2:3]
	v_mul_f64 v[2:3], v[6:7], v[28:29]
	v_fma_f64 v[2:3], v[4:5], v[30:31], -v[2:3]
	v_mul_f64 v[42:43], v[2:3], s[2:3]
	v_mov_b32_e32 v2, s1
	v_addc_co_u32_e32 v1, vcc, v1, v2, vcc
	s_waitcnt lgkmcnt(0)
	v_mul_f64 v[2:3], v[22:23], v[18:19]
	global_store_dwordx4 v[0:1], v[40:43], off
	v_add_co_u32_e32 v0, vcc, s0, v0
	v_fma_f64 v[2:3], v[20:21], v[16:17], v[2:3]
	v_mul_f64 v[28:29], v[2:3], s[2:3]
	v_mul_f64 v[2:3], v[22:23], v[16:17]
	v_fma_f64 v[2:3], v[20:21], v[18:19], -v[2:3]
	ds_read_b128 v[16:19], v230 offset:2448
	v_mul_f64 v[30:31], v[2:3], s[2:3]
	v_mov_b32_e32 v2, s1
	v_addc_co_u32_e32 v1, vcc, v1, v2, vcc
	s_waitcnt lgkmcnt(0)
	v_mul_f64 v[2:3], v[26:27], v[18:19]
	global_store_dwordx4 v[0:1], v[28:31], off
	v_add_co_u32_e32 v0, vcc, s0, v0
	v_fma_f64 v[2:3], v[24:25], v[16:17], v[2:3]
	v_mul_f64 v[20:21], v[2:3], s[2:3]
	v_mul_f64 v[2:3], v[26:27], v[16:17]
	v_fma_f64 v[2:3], v[24:25], v[18:19], -v[2:3]
	ds_read_b128 v[16:19], v230 offset:2720
	;; [unrolled: 12-line block ×5, first 2 shown]
	v_mul_f64 v[22:23], v[2:3], s[2:3]
	v_mov_b32_e32 v2, s1
	v_addc_co_u32_e32 v1, vcc, v1, v2, vcc
	global_store_dwordx4 v[0:1], v[20:23], off
	buffer_load_dword v4, off, s[56:59], 0 offset:40 ; 4-byte Folded Reload
	buffer_load_dword v5, off, s[56:59], 0 offset:44 ; 4-byte Folded Reload
	;; [unrolled: 1-line block ×4, first 2 shown]
	v_add_co_u32_e32 v0, vcc, s0, v0
	ds_read_b128 v[12:15], v230 offset:3808
	s_waitcnt vmcnt(0) lgkmcnt(1)
	v_mul_f64 v[2:3], v[6:7], v[18:19]
	v_fma_f64 v[2:3], v[4:5], v[16:17], v[2:3]
	v_mul_f64 v[20:21], v[2:3], s[2:3]
	v_mul_f64 v[2:3], v[6:7], v[16:17]
	v_fma_f64 v[2:3], v[4:5], v[18:19], -v[2:3]
	v_mul_f64 v[22:23], v[2:3], s[2:3]
	v_mov_b32_e32 v2, s1
	v_addc_co_u32_e32 v1, vcc, v1, v2, vcc
	global_store_dwordx4 v[0:1], v[20:23], off
	buffer_load_dword v4, off, s[56:59], 0 offset:24 ; 4-byte Folded Reload
	buffer_load_dword v5, off, s[56:59], 0 offset:28 ; 4-byte Folded Reload
	;; [unrolled: 1-line block ×4, first 2 shown]
	v_add_co_u32_e32 v0, vcc, s0, v0
	s_waitcnt vmcnt(0) lgkmcnt(0)
	v_mul_f64 v[2:3], v[6:7], v[14:15]
	v_fma_f64 v[2:3], v[4:5], v[12:13], v[2:3]
	v_mul_f64 v[16:17], v[2:3], s[2:3]
	v_mul_f64 v[2:3], v[6:7], v[12:13]
	v_fma_f64 v[2:3], v[4:5], v[14:15], -v[2:3]
	ds_read_b128 v[4:7], v230 offset:4080
	v_mul_f64 v[18:19], v[2:3], s[2:3]
	v_mov_b32_e32 v2, s1
	v_addc_co_u32_e32 v1, vcc, v1, v2, vcc
	global_store_dwordx4 v[0:1], v[16:19], off
	buffer_load_dword v8, off, s[56:59], 0 offset:8 ; 4-byte Folded Reload
	buffer_load_dword v9, off, s[56:59], 0 offset:12 ; 4-byte Folded Reload
	;; [unrolled: 1-line block ×4, first 2 shown]
	v_add_co_u32_e32 v0, vcc, s0, v0
	s_waitcnt vmcnt(0) lgkmcnt(0)
	v_mul_f64 v[2:3], v[10:11], v[6:7]
	v_fma_f64 v[2:3], v[8:9], v[4:5], v[2:3]
	v_mul_f64 v[12:13], v[2:3], s[2:3]
	v_mul_f64 v[2:3], v[10:11], v[4:5]
	v_fma_f64 v[2:3], v[8:9], v[6:7], -v[2:3]
	ds_read_b128 v[4:7], v230 offset:4352
	v_mul_f64 v[14:15], v[2:3], s[2:3]
	v_mov_b32_e32 v2, s1
	v_addc_co_u32_e32 v1, vcc, v1, v2, vcc
	global_store_dwordx4 v[0:1], v[12:15], off
	buffer_load_dword v10, off, s[56:59], 0 offset:72 ; 4-byte Folded Reload
	s_nop 0
	buffer_load_dword v11, off, s[56:59], 0 offset:76 ; 4-byte Folded Reload
	buffer_load_dword v12, off, s[56:59], 0 offset:80 ; 4-byte Folded Reload
	;; [unrolled: 1-line block ×3, first 2 shown]
	v_add_co_u32_e32 v0, vcc, s0, v0
	s_waitcnt vmcnt(0) lgkmcnt(0)
	v_mul_f64 v[2:3], v[12:13], v[6:7]
	v_fma_f64 v[2:3], v[10:11], v[4:5], v[2:3]
	v_mul_f64 v[8:9], v[2:3], s[2:3]
	v_mul_f64 v[2:3], v[12:13], v[4:5]
	v_fma_f64 v[2:3], v[10:11], v[6:7], -v[2:3]
	v_mul_f64 v[10:11], v[2:3], s[2:3]
	v_mov_b32_e32 v2, s1
	v_addc_co_u32_e32 v1, vcc, v1, v2, vcc
	global_store_dwordx4 v[0:1], v[8:11], off
.LBB0_2:
	s_endpgm
	.section	.rodata,"a",@progbits
	.p2align	6, 0x0
	.amdhsa_kernel bluestein_single_back_len289_dim1_dp_op_CI_CI
		.amdhsa_group_segment_fixed_size 32368
		.amdhsa_private_segment_fixed_size 96
		.amdhsa_kernarg_size 104
		.amdhsa_user_sgpr_count 6
		.amdhsa_user_sgpr_private_segment_buffer 1
		.amdhsa_user_sgpr_dispatch_ptr 0
		.amdhsa_user_sgpr_queue_ptr 0
		.amdhsa_user_sgpr_kernarg_segment_ptr 1
		.amdhsa_user_sgpr_dispatch_id 0
		.amdhsa_user_sgpr_flat_scratch_init 0
		.amdhsa_user_sgpr_private_segment_size 0
		.amdhsa_uses_dynamic_stack 0
		.amdhsa_system_sgpr_private_segment_wavefront_offset 1
		.amdhsa_system_sgpr_workgroup_id_x 1
		.amdhsa_system_sgpr_workgroup_id_y 0
		.amdhsa_system_sgpr_workgroup_id_z 0
		.amdhsa_system_sgpr_workgroup_info 0
		.amdhsa_system_vgpr_workitem_id 0
		.amdhsa_next_free_vgpr 256
		.amdhsa_next_free_sgpr 60
		.amdhsa_reserve_vcc 1
		.amdhsa_reserve_flat_scratch 0
		.amdhsa_float_round_mode_32 0
		.amdhsa_float_round_mode_16_64 0
		.amdhsa_float_denorm_mode_32 3
		.amdhsa_float_denorm_mode_16_64 3
		.amdhsa_dx10_clamp 1
		.amdhsa_ieee_mode 1
		.amdhsa_fp16_overflow 0
		.amdhsa_exception_fp_ieee_invalid_op 0
		.amdhsa_exception_fp_denorm_src 0
		.amdhsa_exception_fp_ieee_div_zero 0
		.amdhsa_exception_fp_ieee_overflow 0
		.amdhsa_exception_fp_ieee_underflow 0
		.amdhsa_exception_fp_ieee_inexact 0
		.amdhsa_exception_int_div_zero 0
	.end_amdhsa_kernel
	.text
.Lfunc_end0:
	.size	bluestein_single_back_len289_dim1_dp_op_CI_CI, .Lfunc_end0-bluestein_single_back_len289_dim1_dp_op_CI_CI
                                        ; -- End function
	.section	.AMDGPU.csdata,"",@progbits
; Kernel info:
; codeLenInByte = 29712
; NumSgprs: 64
; NumVgprs: 256
; ScratchSize: 96
; MemoryBound: 0
; FloatMode: 240
; IeeeMode: 1
; LDSByteSize: 32368 bytes/workgroup (compile time only)
; SGPRBlocks: 7
; VGPRBlocks: 63
; NumSGPRsForWavesPerEU: 64
; NumVGPRsForWavesPerEU: 256
; Occupancy: 1
; WaveLimiterHint : 1
; COMPUTE_PGM_RSRC2:SCRATCH_EN: 1
; COMPUTE_PGM_RSRC2:USER_SGPR: 6
; COMPUTE_PGM_RSRC2:TRAP_HANDLER: 0
; COMPUTE_PGM_RSRC2:TGID_X_EN: 1
; COMPUTE_PGM_RSRC2:TGID_Y_EN: 0
; COMPUTE_PGM_RSRC2:TGID_Z_EN: 0
; COMPUTE_PGM_RSRC2:TIDIG_COMP_CNT: 0
	.type	__hip_cuid_3f02bc288613efb,@object ; @__hip_cuid_3f02bc288613efb
	.section	.bss,"aw",@nobits
	.globl	__hip_cuid_3f02bc288613efb
__hip_cuid_3f02bc288613efb:
	.byte	0                               ; 0x0
	.size	__hip_cuid_3f02bc288613efb, 1

	.ident	"AMD clang version 19.0.0git (https://github.com/RadeonOpenCompute/llvm-project roc-6.4.0 25133 c7fe45cf4b819c5991fe208aaa96edf142730f1d)"
	.section	".note.GNU-stack","",@progbits
	.addrsig
	.addrsig_sym __hip_cuid_3f02bc288613efb
	.amdgpu_metadata
---
amdhsa.kernels:
  - .args:
      - .actual_access:  read_only
        .address_space:  global
        .offset:         0
        .size:           8
        .value_kind:     global_buffer
      - .actual_access:  read_only
        .address_space:  global
        .offset:         8
        .size:           8
        .value_kind:     global_buffer
      - .actual_access:  read_only
        .address_space:  global
        .offset:         16
        .size:           8
        .value_kind:     global_buffer
      - .actual_access:  read_only
        .address_space:  global
        .offset:         24
        .size:           8
        .value_kind:     global_buffer
      - .actual_access:  read_only
        .address_space:  global
        .offset:         32
        .size:           8
        .value_kind:     global_buffer
      - .offset:         40
        .size:           8
        .value_kind:     by_value
      - .address_space:  global
        .offset:         48
        .size:           8
        .value_kind:     global_buffer
      - .address_space:  global
        .offset:         56
        .size:           8
        .value_kind:     global_buffer
      - .address_space:  global
        .offset:         64
        .size:           8
        .value_kind:     global_buffer
      - .address_space:  global
        .offset:         72
        .size:           8
        .value_kind:     global_buffer
      - .offset:         80
        .size:           4
        .value_kind:     by_value
      - .address_space:  global
        .offset:         88
        .size:           8
        .value_kind:     global_buffer
      - .address_space:  global
        .offset:         96
        .size:           8
        .value_kind:     global_buffer
    .group_segment_fixed_size: 32368
    .kernarg_segment_align: 8
    .kernarg_segment_size: 104
    .language:       OpenCL C
    .language_version:
      - 2
      - 0
    .max_flat_workgroup_size: 119
    .name:           bluestein_single_back_len289_dim1_dp_op_CI_CI
    .private_segment_fixed_size: 96
    .sgpr_count:     64
    .sgpr_spill_count: 0
    .symbol:         bluestein_single_back_len289_dim1_dp_op_CI_CI.kd
    .uniform_work_group_size: 1
    .uses_dynamic_stack: false
    .vgpr_count:     256
    .vgpr_spill_count: 23
    .wavefront_size: 64
amdhsa.target:   amdgcn-amd-amdhsa--gfx906
amdhsa.version:
  - 1
  - 2
...

	.end_amdgpu_metadata
